;; amdgpu-corpus repo=ROCm/rocSPARSE kind=compiled arch=gfx950 opt=O3
	.amdgcn_target "amdgcn-amd-amdhsa--gfx950"
	.amdhsa_code_object_version 6
	.section	.text._ZN9rocsparseL20kernel_calculate_cooILi1024ELi32ELb1EfiiEEvT4_T3_PKS1_S4_PKT2_21rocsparse_index_base_PKS2_SA_S4_SA_SA_S4_SA_PS5_PNS_15floating_traitsIS5_E6data_tEPKSE_,"axG",@progbits,_ZN9rocsparseL20kernel_calculate_cooILi1024ELi32ELb1EfiiEEvT4_T3_PKS1_S4_PKT2_21rocsparse_index_base_PKS2_SA_S4_SA_SA_S4_SA_PS5_PNS_15floating_traitsIS5_E6data_tEPKSE_,comdat
	.globl	_ZN9rocsparseL20kernel_calculate_cooILi1024ELi32ELb1EfiiEEvT4_T3_PKS1_S4_PKT2_21rocsparse_index_base_PKS2_SA_S4_SA_SA_S4_SA_PS5_PNS_15floating_traitsIS5_E6data_tEPKSE_ ; -- Begin function _ZN9rocsparseL20kernel_calculate_cooILi1024ELi32ELb1EfiiEEvT4_T3_PKS1_S4_PKT2_21rocsparse_index_base_PKS2_SA_S4_SA_SA_S4_SA_PS5_PNS_15floating_traitsIS5_E6data_tEPKSE_
	.p2align	8
	.type	_ZN9rocsparseL20kernel_calculate_cooILi1024ELi32ELb1EfiiEEvT4_T3_PKS1_S4_PKT2_21rocsparse_index_base_PKS2_SA_S4_SA_SA_S4_SA_PS5_PNS_15floating_traitsIS5_E6data_tEPKSE_,@function
_ZN9rocsparseL20kernel_calculate_cooILi1024ELi32ELb1EfiiEEvT4_T3_PKS1_S4_PKT2_21rocsparse_index_base_PKS2_SA_S4_SA_SA_S4_SA_PS5_PNS_15floating_traitsIS5_E6data_tEPKSE_: ; @_ZN9rocsparseL20kernel_calculate_cooILi1024ELi32ELb1EfiiEEvT4_T3_PKS1_S4_PKT2_21rocsparse_index_base_PKS2_SA_S4_SA_SA_S4_SA_PS5_PNS_15floating_traitsIS5_E6data_tEPKSE_
; %bb.0:
	s_load_dword s33, s[0:1], 0x4
	v_lshl_or_b32 v2, s2, 16, v0
	v_mov_b32_e32 v1, 0
	s_waitcnt lgkmcnt(0)
	v_cmp_gt_i32_e32 vcc, s33, v2
	s_and_saveexec_b64 s[24:25], vcc
	s_cbranch_execz .LBB0_29
; %bb.1:
	s_load_dwordx8 s[4:11], s[0:1], 0x48
	s_load_dwordx4 s[20:23], s[0:1], 0x8
	s_load_dwordx2 s[26:27], s[0:1], 0x18
	s_load_dwordx8 s[12:19], s[0:1], 0x28
	s_load_dword s42, s[0:1], 0x20
	v_mov_b32_e32 v1, 0
	s_mov_b32 s43, 0
	s_mov_b32 s44, 0x7f800000
	s_movk_i32 s45, 0x1f8
	s_branch .LBB0_4
.LBB0_2:                                ;   in Loop: Header=BB0_4 Depth=1
	s_or_b64 exec, exec, s[34:35]
	s_or_b64 s[2:3], s[2:3], s[30:31]
	v_cndmask_b32_e64 v1, |v5|, v1, s[2:3]
.LBB0_3:                                ;   in Loop: Header=BB0_4 Depth=1
	s_or_b64 exec, exec, s[28:29]
	s_add_i32 s43, s43, 1
	s_cmp_lg_u32 s43, 64
	v_add_u32_e32 v2, 0x400, v2
	s_cbranch_scc0 .LBB0_29
.LBB0_4:                                ; =>This Loop Header: Depth=1
                                        ;     Child Loop BB0_8 Depth 2
                                        ;     Child Loop BB0_14 Depth 2
	;; [unrolled: 1-line block ×3, first 2 shown]
	v_cmp_gt_i32_e32 vcc, s33, v2
	s_and_saveexec_b64 s[28:29], vcc
	s_cbranch_execz .LBB0_3
; %bb.5:                                ;   in Loop: Header=BB0_4 Depth=1
	v_ashrrev_i32_e32 v3, 31, v2
	v_lshlrev_b64 v[4:5], 2, v[2:3]
	s_waitcnt lgkmcnt(0)
	v_lshl_add_u64 v[6:7], s[22:23], 0, v[4:5]
	global_load_dword v12, v[6:7], off
	v_lshl_add_u64 v[6:7], s[20:21], 0, v[4:5]
	global_load_dword v13, v[6:7], off
	v_lshl_add_u64 v[4:5], s[26:27], 0, v[4:5]
	s_waitcnt vmcnt(1)
	v_subrev_u32_e32 v6, s42, v12
	v_ashrrev_i32_e32 v7, 31, v6
	v_lshlrev_b64 v[6:7], 2, v[6:7]
	v_lshl_add_u64 v[8:9], s[14:15], 0, v[6:7]
	global_load_dword v14, v[8:9], off
	s_waitcnt vmcnt(1)
	v_subrev_u32_e32 v8, s42, v13
	v_ashrrev_i32_e32 v9, 31, v8
	v_lshlrev_b64 v[8:9], 2, v[8:9]
	v_lshl_add_u64 v[10:11], s[14:15], 0, v[8:9]
	global_load_dword v16, v[10:11], off
	v_lshl_add_u64 v[10:11], s[4:5], 0, v[6:7]
	v_lshl_add_u64 v[8:9], s[12:13], 0, v[8:9]
	;; [unrolled: 1-line block ×3, first 2 shown]
	global_load_dword v10, v[10:11], off
	s_waitcnt vmcnt(1)
	v_subrev_u32_e32 v17, s42, v16
	global_load_dword v8, v[8:9], off
	s_nop 0
	global_load_dword v9, v[6:7], off
	global_load_dword v15, v[4:5], off
	v_subrev_u32_e32 v4, s42, v14
	v_ashrrev_i32_e32 v5, 31, v4
	v_lshl_add_u64 v[4:5], v[4:5], 2, s[10:11]
	global_load_dword v14, v[4:5], off
	s_waitcnt vmcnt(4)
	v_subrev_u32_e32 v19, s42, v10
	s_waitcnt vmcnt(3)
	v_cmp_lt_i32_e32 vcc, v8, v16
	s_waitcnt vmcnt(2)
	v_cmp_lt_i32_e64 s[2:3], v9, v10
	v_subrev_u32_e32 v4, s42, v8
	v_subrev_u32_e32 v6, s42, v9
	s_and_b64 s[2:3], vcc, s[2:3]
	v_mov_b32_e32 v16, 0
	s_and_saveexec_b64 s[30:31], s[2:3]
	s_cbranch_execz .LBB0_11
; %bb.6:                                ;   in Loop: Header=BB0_4 Depth=1
	v_mov_b32_e32 v16, 0
	s_mov_b64 s[34:35], 0
	s_branch .LBB0_8
.LBB0_7:                                ;   in Loop: Header=BB0_8 Depth=2
	s_or_b64 exec, exec, s[2:3]
	v_cmp_le_i32_e32 vcc, v8, v9
	s_nop 1
	v_addc_co_u32_e32 v4, vcc, 0, v4, vcc
	v_cmp_ge_i32_e32 vcc, v8, v9
	s_nop 1
	v_addc_co_u32_e32 v6, vcc, 0, v6, vcc
	v_cmp_ge_i32_e32 vcc, v4, v17
	v_cmp_ge_i32_e64 s[2:3], v6, v19
	s_or_b64 s[2:3], vcc, s[2:3]
	s_and_b64 s[2:3], exec, s[2:3]
	s_or_b64 s[34:35], s[2:3], s[34:35]
	s_andn2_b64 exec, exec, s[34:35]
	s_cbranch_execz .LBB0_10
.LBB0_8:                                ;   Parent Loop BB0_4 Depth=1
                                        ; =>  This Inner Loop Header: Depth=2
	v_ashrrev_i32_e32 v5, 31, v4
	v_ashrrev_i32_e32 v7, 31, v6
	v_lshl_add_u64 v[8:9], v[4:5], 2, s[16:17]
	v_lshl_add_u64 v[10:11], v[6:7], 2, s[6:7]
	global_load_dword v8, v[8:9], off
	s_nop 0
	global_load_dword v9, v[10:11], off
	s_waitcnt vmcnt(0)
	v_cmp_eq_u32_e32 vcc, v8, v9
	s_and_saveexec_b64 s[2:3], vcc
	s_cbranch_execz .LBB0_7
; %bb.9:                                ;   in Loop: Header=BB0_8 Depth=2
	v_lshl_add_u64 v[10:11], v[6:7], 2, s[8:9]
	global_load_dword v10, v[10:11], off
	v_lshl_add_u64 v[20:21], v[4:5], 2, s[10:11]
	global_load_dword v5, v[20:21], off
	s_waitcnt vmcnt(1)
	v_ashrrev_i32_e32 v11, 31, v10
	v_lshl_add_u64 v[10:11], v[10:11], 2, s[10:11]
	global_load_dword v7, v[10:11], off
	s_waitcnt vmcnt(0)
	v_fmac_f32_e32 v16, v5, v7
	s_branch .LBB0_7
.LBB0_10:                               ;   in Loop: Header=BB0_4 Depth=1
	s_or_b64 exec, exec, s[34:35]
.LBB0_11:                               ;   in Loop: Header=BB0_4 Depth=1
	s_or_b64 exec, exec, s[30:31]
	s_waitcnt vmcnt(1)
	v_sub_f32_e32 v18, v16, v15
	v_cmp_lt_i32_e32 vcc, v6, v19
	s_and_saveexec_b64 s[2:3], vcc
	s_cbranch_execz .LBB0_19
; %bb.12:                               ;   in Loop: Header=BB0_4 Depth=1
	v_ashrrev_i32_e32 v7, 31, v6
	v_lshl_add_u64 v[8:9], v[6:7], 2, s[6:7]
	s_mov_b64 s[30:31], 0
                                        ; implicit-def: $sgpr34_sgpr35
                                        ; implicit-def: $sgpr38_sgpr39
                                        ; implicit-def: $sgpr36_sgpr37
	s_branch .LBB0_14
.LBB0_13:                               ;   in Loop: Header=BB0_14 Depth=2
	s_or_b64 exec, exec, s[40:41]
	s_and_b64 s[40:41], exec, s[38:39]
	s_or_b64 s[30:31], s[40:41], s[30:31]
	s_andn2_b64 s[34:35], s[34:35], exec
	s_and_b64 s[40:41], s[36:37], exec
	s_or_b64 s[34:35], s[34:35], s[40:41]
	s_andn2_b64 exec, exec, s[30:31]
	s_cbranch_execz .LBB0_16
.LBB0_14:                               ;   Parent Loop BB0_4 Depth=1
                                        ; =>  This Inner Loop Header: Depth=2
	global_load_dword v5, v[8:9], off
	v_mov_b64_e32 v[10:11], v[6:7]
	s_or_b64 s[36:37], s[36:37], exec
	s_or_b64 s[38:39], s[38:39], exec
                                        ; implicit-def: $vgpr6_vgpr7
	s_waitcnt vmcnt(0)
	v_cmp_ne_u32_e32 vcc, v5, v13
	s_and_saveexec_b64 s[40:41], vcc
	s_cbranch_execz .LBB0_13
; %bb.15:                               ;   in Loop: Header=BB0_14 Depth=2
	v_lshl_add_u64 v[6:7], v[10:11], 0, 1
	v_cmp_ge_i32_e32 vcc, v6, v19
	s_andn2_b64 s[38:39], s[38:39], exec
	s_and_b64 s[46:47], vcc, exec
	v_lshl_add_u64 v[8:9], v[8:9], 0, 4
	s_andn2_b64 s[36:37], s[36:37], exec
	s_or_b64 s[38:39], s[38:39], s[46:47]
	s_branch .LBB0_13
.LBB0_16:                               ;   in Loop: Header=BB0_4 Depth=1
	s_or_b64 exec, exec, s[30:31]
	s_and_saveexec_b64 s[30:31], s[34:35]
	s_xor_b64 s[30:31], exec, s[30:31]
	s_cbranch_execz .LBB0_18
; %bb.17:                               ;   in Loop: Header=BB0_4 Depth=1
	v_lshl_add_u64 v[6:7], v[10:11], 2, s[8:9]
	global_load_dword v6, v[6:7], off
	s_waitcnt vmcnt(0)
	v_ashrrev_i32_e32 v7, 31, v6
	v_lshl_add_u64 v[6:7], v[6:7], 2, s[10:11]
	global_load_dword v5, v[6:7], off
	s_waitcnt vmcnt(0)
	v_add_f32_e32 v18, v18, v5
.LBB0_18:                               ;   in Loop: Header=BB0_4 Depth=1
	s_or_b64 exec, exec, s[30:31]
.LBB0_19:                               ;   in Loop: Header=BB0_4 Depth=1
	s_or_b64 exec, exec, s[2:3]
	v_cmp_lt_i32_e32 vcc, v4, v17
	s_and_saveexec_b64 s[2:3], vcc
	s_cbranch_execz .LBB0_27
; %bb.20:                               ;   in Loop: Header=BB0_4 Depth=1
	v_ashrrev_i32_e32 v5, 31, v4
	v_lshl_add_u64 v[6:7], v[4:5], 2, s[16:17]
	s_mov_b64 s[30:31], 0
                                        ; implicit-def: $sgpr34_sgpr35
                                        ; implicit-def: $sgpr38_sgpr39
                                        ; implicit-def: $sgpr36_sgpr37
	s_branch .LBB0_22
.LBB0_21:                               ;   in Loop: Header=BB0_22 Depth=2
	s_or_b64 exec, exec, s[40:41]
	s_and_b64 s[40:41], exec, s[38:39]
	s_or_b64 s[30:31], s[40:41], s[30:31]
	s_andn2_b64 s[34:35], s[34:35], exec
	s_and_b64 s[40:41], s[36:37], exec
	s_or_b64 s[34:35], s[34:35], s[40:41]
	s_andn2_b64 exec, exec, s[30:31]
	s_cbranch_execz .LBB0_24
.LBB0_22:                               ;   Parent Loop BB0_4 Depth=1
                                        ; =>  This Inner Loop Header: Depth=2
	global_load_dword v10, v[6:7], off
	v_mov_b64_e32 v[8:9], v[4:5]
	s_or_b64 s[36:37], s[36:37], exec
	s_or_b64 s[38:39], s[38:39], exec
                                        ; implicit-def: $vgpr4_vgpr5
	s_waitcnt vmcnt(0)
	v_cmp_ne_u32_e32 vcc, v10, v12
	s_and_saveexec_b64 s[40:41], vcc
	s_cbranch_execz .LBB0_21
; %bb.23:                               ;   in Loop: Header=BB0_22 Depth=2
	v_lshl_add_u64 v[4:5], v[8:9], 0, 1
	v_cmp_ge_i32_e32 vcc, v4, v17
	s_andn2_b64 s[38:39], s[38:39], exec
	s_and_b64 s[46:47], vcc, exec
	v_lshl_add_u64 v[6:7], v[6:7], 0, 4
	s_andn2_b64 s[36:37], s[36:37], exec
	s_or_b64 s[38:39], s[38:39], s[46:47]
	s_branch .LBB0_21
.LBB0_24:                               ;   in Loop: Header=BB0_4 Depth=1
	s_or_b64 exec, exec, s[30:31]
	s_and_saveexec_b64 s[30:31], s[34:35]
	s_xor_b64 s[30:31], exec, s[30:31]
	s_cbranch_execz .LBB0_26
; %bb.25:                               ;   in Loop: Header=BB0_4 Depth=1
	v_lshl_add_u64 v[4:5], v[8:9], 2, s[10:11]
	global_load_dword v4, v[4:5], off
	s_waitcnt vmcnt(0)
	v_fmac_f32_e32 v18, v4, v14
.LBB0_26:                               ;   in Loop: Header=BB0_4 Depth=1
	s_or_b64 exec, exec, s[30:31]
.LBB0_27:                               ;   in Loop: Header=BB0_4 Depth=1
	s_or_b64 exec, exec, s[2:3]
	v_sub_f32_e32 v4, v15, v16
	s_waitcnt vmcnt(0)
	v_div_scale_f32 v5, s[2:3], v14, v14, v4
	v_rcp_f32_e32 v6, v5
	v_div_scale_f32 v7, vcc, v4, v14, v4
	v_fma_f32 v8, -v5, v6, 1.0
	v_fmac_f32_e32 v6, v8, v6
	v_mul_f32_e32 v8, v7, v6
	v_fma_f32 v9, -v5, v8, v7
	v_fmac_f32_e32 v8, v9, v6
	v_fma_f32 v5, -v5, v8, v7
	v_div_fmas_f32 v5, v5, v6, v8
	v_div_fixup_f32 v5, v5, v14, v4
	v_cmp_gt_i32_e32 vcc, v13, v12
	s_nop 1
	v_cndmask_b32_e32 v4, v4, v5, vcc
	v_add_f32_e32 v5, v14, v18
	v_cmp_eq_u32_e32 vcc, v13, v12
	v_cmp_class_f32_e64 s[36:37], v4, s45
	s_nop 0
	v_cndmask_b32_e32 v5, v18, v5, vcc
	v_cmp_nlg_f32_e64 s[2:3], |v5|, s44
	v_cmp_gt_f32_e64 s[30:31], v1, |v5|
	s_and_saveexec_b64 s[34:35], s[36:37]
	s_cbranch_execz .LBB0_2
; %bb.28:                               ;   in Loop: Header=BB0_4 Depth=1
	v_lshl_add_u64 v[6:7], v[2:3], 2, s[10:11]
	global_store_dword v[6:7], v4, off
	s_branch .LBB0_2
.LBB0_29:
	s_or_b64 exec, exec, s[24:25]
	v_mov_b32_dpp v2, v1 row_shr:1 row_mask:0xf bank_mask:0xf
	v_cmp_lt_f32_e32 vcc, v1, v2
	v_and_b32_e32 v3, 31, v0
	s_nop 0
	v_cndmask_b32_e32 v1, v1, v2, vcc
	s_nop 1
	v_mov_b32_dpp v2, v1 row_shr:2 row_mask:0xf bank_mask:0xf
	v_cmp_lt_f32_e32 vcc, v1, v2
	s_nop 1
	v_cndmask_b32_e32 v1, v1, v2, vcc
	s_nop 1
	v_mov_b32_dpp v2, v1 row_shr:4 row_mask:0xf bank_mask:0xe
	v_cmp_lt_f32_e32 vcc, v1, v2
	;; [unrolled: 5-line block ×3, first 2 shown]
	s_nop 1
	v_cndmask_b32_e32 v1, v1, v2, vcc
	v_cmp_eq_u32_e32 vcc, 31, v3
	s_nop 0
	v_mov_b32_dpp v2, v1 row_bcast:15 row_mask:0xa bank_mask:0xf
	s_and_saveexec_b64 s[2:3], vcc
; %bb.30:
	v_lshrrev_b32_e32 v3, 3, v0
	v_cmp_lt_f32_e32 vcc, v1, v2
	v_and_b32_e32 v3, 0x7c, v3
	s_nop 0
	v_cndmask_b32_e32 v1, v1, v2, vcc
	ds_write_b32 v3, v1
; %bb.31:
	s_or_b64 exec, exec, s[2:3]
	v_cmp_gt_u32_e32 vcc, 16, v0
	v_lshlrev_b32_e32 v1, 2, v0
	s_waitcnt lgkmcnt(0)
	s_barrier
	s_and_saveexec_b64 s[2:3], vcc
	s_cbranch_execz .LBB0_33
; %bb.32:
	ds_read2_b32 v[2:3], v1 offset1:16
	s_waitcnt lgkmcnt(0)
	v_cmp_lt_f32_e32 vcc, v2, v3
	s_nop 1
	v_cndmask_b32_e32 v2, v2, v3, vcc
	ds_write_b32 v1, v2
.LBB0_33:
	s_or_b64 exec, exec, s[2:3]
	v_cmp_gt_u32_e32 vcc, 8, v0
	s_waitcnt lgkmcnt(0)
	s_barrier
	s_and_saveexec_b64 s[2:3], vcc
	s_cbranch_execz .LBB0_35
; %bb.34:
	ds_read2_b32 v[2:3], v1 offset1:8
	s_waitcnt lgkmcnt(0)
	v_cmp_lt_f32_e32 vcc, v2, v3
	s_nop 1
	v_cndmask_b32_e32 v2, v2, v3, vcc
	ds_write_b32 v1, v2
.LBB0_35:
	s_or_b64 exec, exec, s[2:3]
	v_cmp_gt_u32_e32 vcc, 4, v0
	;; [unrolled: 14-line block ×3, first 2 shown]
	s_waitcnt lgkmcnt(0)
	s_barrier
	s_and_saveexec_b64 s[2:3], vcc
	s_cbranch_execz .LBB0_39
; %bb.38:
	ds_read2_b32 v[2:3], v1 offset1:2
	s_waitcnt lgkmcnt(0)
	v_cmp_lt_f32_e32 vcc, v2, v3
	s_nop 1
	v_cndmask_b32_e32 v2, v2, v3, vcc
	ds_write_b32 v1, v2
.LBB0_39:
	s_or_b64 exec, exec, s[2:3]
	v_cmp_eq_u32_e32 vcc, 0, v0
	s_waitcnt lgkmcnt(0)
	s_barrier
	s_and_saveexec_b64 s[4:5], vcc
	s_cbranch_execz .LBB0_41
; %bb.40:
	v_mov_b32_e32 v2, 0
	ds_read_b64 v[0:1], v2
	s_waitcnt lgkmcnt(0)
	v_cmp_lt_f32_e64 s[2:3], v0, v1
	s_nop 1
	v_cndmask_b32_e64 v0, v0, v1, s[2:3]
	ds_write_b32 v2, v0
.LBB0_41:
	s_or_b64 exec, exec, s[4:5]
	s_waitcnt lgkmcnt(0)
	s_barrier
	s_and_saveexec_b64 s[2:3], vcc
	s_cbranch_execz .LBB0_45
; %bb.42:
	v_mbcnt_lo_u32_b32 v0, exec_lo, 0
	v_mbcnt_hi_u32_b32 v0, exec_hi, v0
	v_cmp_eq_u32_e32 vcc, 0, v0
	s_and_b64 exec, exec, vcc
	s_cbranch_execz .LBB0_45
; %bb.43:
	s_load_dwordx4 s[4:7], s[0:1], 0x68
	v_mov_b32_e32 v2, 0
	ds_read_b32 v0, v2
	s_mov_b64 s[0:1], 0
	s_waitcnt lgkmcnt(0)
	s_load_dword s6, s[6:7], 0x0
	s_waitcnt lgkmcnt(0)
	v_div_scale_f32 v1, s[2:3], s6, s6, v0
	v_rcp_f32_e32 v3, v1
	v_div_scale_f32 v4, vcc, v0, s6, v0
	s_load_dword s2, s[4:5], 0x0
	v_fma_f32 v5, -v1, v3, 1.0
	v_fmac_f32_e32 v3, v5, v3
	v_mul_f32_e32 v5, v4, v3
	v_fma_f32 v6, -v1, v5, v4
	v_fmac_f32_e32 v5, v6, v3
	v_fma_f32 v1, -v1, v5, v4
	v_div_fmas_f32 v1, v1, v3, v5
	v_div_fixup_f32 v0, v1, s6, v0
	s_waitcnt lgkmcnt(0)
	v_mov_b32_e32 v1, s2
	v_max_f32_e32 v3, v0, v0
.LBB0_44:                               ; =>This Inner Loop Header: Depth=1
	v_max_f32_e32 v0, v1, v1
	v_max_f32_e32 v0, v0, v3
	global_atomic_cmpswap v0, v2, v[0:1], s[4:5] sc0
	s_waitcnt vmcnt(0)
	v_cmp_eq_u32_e32 vcc, v0, v1
	s_or_b64 s[0:1], vcc, s[0:1]
	v_mov_b32_e32 v1, v0
	s_andn2_b64 exec, exec, s[0:1]
	s_cbranch_execnz .LBB0_44
.LBB0_45:
	s_endpgm
	.section	.rodata,"a",@progbits
	.p2align	6, 0x0
	.amdhsa_kernel _ZN9rocsparseL20kernel_calculate_cooILi1024ELi32ELb1EfiiEEvT4_T3_PKS1_S4_PKT2_21rocsparse_index_base_PKS2_SA_S4_SA_SA_S4_SA_PS5_PNS_15floating_traitsIS5_E6data_tEPKSE_
		.amdhsa_group_segment_fixed_size 128
		.amdhsa_private_segment_fixed_size 0
		.amdhsa_kernarg_size 120
		.amdhsa_user_sgpr_count 2
		.amdhsa_user_sgpr_dispatch_ptr 0
		.amdhsa_user_sgpr_queue_ptr 0
		.amdhsa_user_sgpr_kernarg_segment_ptr 1
		.amdhsa_user_sgpr_dispatch_id 0
		.amdhsa_user_sgpr_kernarg_preload_length 0
		.amdhsa_user_sgpr_kernarg_preload_offset 0
		.amdhsa_user_sgpr_private_segment_size 0
		.amdhsa_uses_dynamic_stack 0
		.amdhsa_enable_private_segment 0
		.amdhsa_system_sgpr_workgroup_id_x 1
		.amdhsa_system_sgpr_workgroup_id_y 0
		.amdhsa_system_sgpr_workgroup_id_z 0
		.amdhsa_system_sgpr_workgroup_info 0
		.amdhsa_system_vgpr_workitem_id 0
		.amdhsa_next_free_vgpr 22
		.amdhsa_next_free_sgpr 48
		.amdhsa_accum_offset 24
		.amdhsa_reserve_vcc 1
		.amdhsa_float_round_mode_32 0
		.amdhsa_float_round_mode_16_64 0
		.amdhsa_float_denorm_mode_32 3
		.amdhsa_float_denorm_mode_16_64 3
		.amdhsa_dx10_clamp 1
		.amdhsa_ieee_mode 1
		.amdhsa_fp16_overflow 0
		.amdhsa_tg_split 0
		.amdhsa_exception_fp_ieee_invalid_op 0
		.amdhsa_exception_fp_denorm_src 0
		.amdhsa_exception_fp_ieee_div_zero 0
		.amdhsa_exception_fp_ieee_overflow 0
		.amdhsa_exception_fp_ieee_underflow 0
		.amdhsa_exception_fp_ieee_inexact 0
		.amdhsa_exception_int_div_zero 0
	.end_amdhsa_kernel
	.section	.text._ZN9rocsparseL20kernel_calculate_cooILi1024ELi32ELb1EfiiEEvT4_T3_PKS1_S4_PKT2_21rocsparse_index_base_PKS2_SA_S4_SA_SA_S4_SA_PS5_PNS_15floating_traitsIS5_E6data_tEPKSE_,"axG",@progbits,_ZN9rocsparseL20kernel_calculate_cooILi1024ELi32ELb1EfiiEEvT4_T3_PKS1_S4_PKT2_21rocsparse_index_base_PKS2_SA_S4_SA_SA_S4_SA_PS5_PNS_15floating_traitsIS5_E6data_tEPKSE_,comdat
.Lfunc_end0:
	.size	_ZN9rocsparseL20kernel_calculate_cooILi1024ELi32ELb1EfiiEEvT4_T3_PKS1_S4_PKT2_21rocsparse_index_base_PKS2_SA_S4_SA_SA_S4_SA_PS5_PNS_15floating_traitsIS5_E6data_tEPKSE_, .Lfunc_end0-_ZN9rocsparseL20kernel_calculate_cooILi1024ELi32ELb1EfiiEEvT4_T3_PKS1_S4_PKT2_21rocsparse_index_base_PKS2_SA_S4_SA_SA_S4_SA_PS5_PNS_15floating_traitsIS5_E6data_tEPKSE_
                                        ; -- End function
	.set _ZN9rocsparseL20kernel_calculate_cooILi1024ELi32ELb1EfiiEEvT4_T3_PKS1_S4_PKT2_21rocsparse_index_base_PKS2_SA_S4_SA_SA_S4_SA_PS5_PNS_15floating_traitsIS5_E6data_tEPKSE_.num_vgpr, 22
	.set _ZN9rocsparseL20kernel_calculate_cooILi1024ELi32ELb1EfiiEEvT4_T3_PKS1_S4_PKT2_21rocsparse_index_base_PKS2_SA_S4_SA_SA_S4_SA_PS5_PNS_15floating_traitsIS5_E6data_tEPKSE_.num_agpr, 0
	.set _ZN9rocsparseL20kernel_calculate_cooILi1024ELi32ELb1EfiiEEvT4_T3_PKS1_S4_PKT2_21rocsparse_index_base_PKS2_SA_S4_SA_SA_S4_SA_PS5_PNS_15floating_traitsIS5_E6data_tEPKSE_.numbered_sgpr, 48
	.set _ZN9rocsparseL20kernel_calculate_cooILi1024ELi32ELb1EfiiEEvT4_T3_PKS1_S4_PKT2_21rocsparse_index_base_PKS2_SA_S4_SA_SA_S4_SA_PS5_PNS_15floating_traitsIS5_E6data_tEPKSE_.num_named_barrier, 0
	.set _ZN9rocsparseL20kernel_calculate_cooILi1024ELi32ELb1EfiiEEvT4_T3_PKS1_S4_PKT2_21rocsparse_index_base_PKS2_SA_S4_SA_SA_S4_SA_PS5_PNS_15floating_traitsIS5_E6data_tEPKSE_.private_seg_size, 0
	.set _ZN9rocsparseL20kernel_calculate_cooILi1024ELi32ELb1EfiiEEvT4_T3_PKS1_S4_PKT2_21rocsparse_index_base_PKS2_SA_S4_SA_SA_S4_SA_PS5_PNS_15floating_traitsIS5_E6data_tEPKSE_.uses_vcc, 1
	.set _ZN9rocsparseL20kernel_calculate_cooILi1024ELi32ELb1EfiiEEvT4_T3_PKS1_S4_PKT2_21rocsparse_index_base_PKS2_SA_S4_SA_SA_S4_SA_PS5_PNS_15floating_traitsIS5_E6data_tEPKSE_.uses_flat_scratch, 0
	.set _ZN9rocsparseL20kernel_calculate_cooILi1024ELi32ELb1EfiiEEvT4_T3_PKS1_S4_PKT2_21rocsparse_index_base_PKS2_SA_S4_SA_SA_S4_SA_PS5_PNS_15floating_traitsIS5_E6data_tEPKSE_.has_dyn_sized_stack, 0
	.set _ZN9rocsparseL20kernel_calculate_cooILi1024ELi32ELb1EfiiEEvT4_T3_PKS1_S4_PKT2_21rocsparse_index_base_PKS2_SA_S4_SA_SA_S4_SA_PS5_PNS_15floating_traitsIS5_E6data_tEPKSE_.has_recursion, 0
	.set _ZN9rocsparseL20kernel_calculate_cooILi1024ELi32ELb1EfiiEEvT4_T3_PKS1_S4_PKT2_21rocsparse_index_base_PKS2_SA_S4_SA_SA_S4_SA_PS5_PNS_15floating_traitsIS5_E6data_tEPKSE_.has_indirect_call, 0
	.section	.AMDGPU.csdata,"",@progbits
; Kernel info:
; codeLenInByte = 1872
; TotalNumSgprs: 54
; NumVgprs: 22
; NumAgprs: 0
; TotalNumVgprs: 22
; ScratchSize: 0
; MemoryBound: 0
; FloatMode: 240
; IeeeMode: 1
; LDSByteSize: 128 bytes/workgroup (compile time only)
; SGPRBlocks: 6
; VGPRBlocks: 2
; NumSGPRsForWavesPerEU: 54
; NumVGPRsForWavesPerEU: 22
; AccumOffset: 24
; Occupancy: 8
; WaveLimiterHint : 1
; COMPUTE_PGM_RSRC2:SCRATCH_EN: 0
; COMPUTE_PGM_RSRC2:USER_SGPR: 2
; COMPUTE_PGM_RSRC2:TRAP_HANDLER: 0
; COMPUTE_PGM_RSRC2:TGID_X_EN: 1
; COMPUTE_PGM_RSRC2:TGID_Y_EN: 0
; COMPUTE_PGM_RSRC2:TGID_Z_EN: 0
; COMPUTE_PGM_RSRC2:TIDIG_COMP_CNT: 0
; COMPUTE_PGM_RSRC3_GFX90A:ACCUM_OFFSET: 5
; COMPUTE_PGM_RSRC3_GFX90A:TG_SPLIT: 0
	.section	.text._ZN9rocsparseL20kernel_calculate_cooILi1024ELi64ELb1EfiiEEvT4_T3_PKS1_S4_PKT2_21rocsparse_index_base_PKS2_SA_S4_SA_SA_S4_SA_PS5_PNS_15floating_traitsIS5_E6data_tEPKSE_,"axG",@progbits,_ZN9rocsparseL20kernel_calculate_cooILi1024ELi64ELb1EfiiEEvT4_T3_PKS1_S4_PKT2_21rocsparse_index_base_PKS2_SA_S4_SA_SA_S4_SA_PS5_PNS_15floating_traitsIS5_E6data_tEPKSE_,comdat
	.globl	_ZN9rocsparseL20kernel_calculate_cooILi1024ELi64ELb1EfiiEEvT4_T3_PKS1_S4_PKT2_21rocsparse_index_base_PKS2_SA_S4_SA_SA_S4_SA_PS5_PNS_15floating_traitsIS5_E6data_tEPKSE_ ; -- Begin function _ZN9rocsparseL20kernel_calculate_cooILi1024ELi64ELb1EfiiEEvT4_T3_PKS1_S4_PKT2_21rocsparse_index_base_PKS2_SA_S4_SA_SA_S4_SA_PS5_PNS_15floating_traitsIS5_E6data_tEPKSE_
	.p2align	8
	.type	_ZN9rocsparseL20kernel_calculate_cooILi1024ELi64ELb1EfiiEEvT4_T3_PKS1_S4_PKT2_21rocsparse_index_base_PKS2_SA_S4_SA_SA_S4_SA_PS5_PNS_15floating_traitsIS5_E6data_tEPKSE_,@function
_ZN9rocsparseL20kernel_calculate_cooILi1024ELi64ELb1EfiiEEvT4_T3_PKS1_S4_PKT2_21rocsparse_index_base_PKS2_SA_S4_SA_SA_S4_SA_PS5_PNS_15floating_traitsIS5_E6data_tEPKSE_: ; @_ZN9rocsparseL20kernel_calculate_cooILi1024ELi64ELb1EfiiEEvT4_T3_PKS1_S4_PKT2_21rocsparse_index_base_PKS2_SA_S4_SA_SA_S4_SA_PS5_PNS_15floating_traitsIS5_E6data_tEPKSE_
; %bb.0:
	s_load_dword s33, s[0:1], 0x4
	v_lshl_or_b32 v2, s2, 16, v0
	v_mov_b32_e32 v1, 0
	s_waitcnt lgkmcnt(0)
	v_cmp_gt_i32_e32 vcc, s33, v2
	s_and_saveexec_b64 s[24:25], vcc
	s_cbranch_execz .LBB1_29
; %bb.1:
	s_load_dwordx8 s[4:11], s[0:1], 0x48
	s_load_dwordx4 s[20:23], s[0:1], 0x8
	s_load_dwordx2 s[26:27], s[0:1], 0x18
	s_load_dwordx8 s[12:19], s[0:1], 0x28
	s_load_dword s42, s[0:1], 0x20
	v_mov_b32_e32 v1, 0
	s_mov_b32 s43, 0
	s_mov_b32 s44, 0x7f800000
	s_movk_i32 s45, 0x1f8
	s_branch .LBB1_4
.LBB1_2:                                ;   in Loop: Header=BB1_4 Depth=1
	s_or_b64 exec, exec, s[34:35]
	s_or_b64 s[2:3], s[2:3], s[30:31]
	v_cndmask_b32_e64 v1, |v5|, v1, s[2:3]
.LBB1_3:                                ;   in Loop: Header=BB1_4 Depth=1
	s_or_b64 exec, exec, s[28:29]
	s_add_i32 s43, s43, 1
	s_cmp_lg_u32 s43, 64
	v_add_u32_e32 v2, 0x400, v2
	s_cbranch_scc0 .LBB1_29
.LBB1_4:                                ; =>This Loop Header: Depth=1
                                        ;     Child Loop BB1_8 Depth 2
                                        ;     Child Loop BB1_14 Depth 2
	;; [unrolled: 1-line block ×3, first 2 shown]
	v_cmp_gt_i32_e32 vcc, s33, v2
	s_and_saveexec_b64 s[28:29], vcc
	s_cbranch_execz .LBB1_3
; %bb.5:                                ;   in Loop: Header=BB1_4 Depth=1
	v_ashrrev_i32_e32 v3, 31, v2
	v_lshlrev_b64 v[4:5], 2, v[2:3]
	s_waitcnt lgkmcnt(0)
	v_lshl_add_u64 v[6:7], s[22:23], 0, v[4:5]
	global_load_dword v12, v[6:7], off
	v_lshl_add_u64 v[6:7], s[20:21], 0, v[4:5]
	global_load_dword v13, v[6:7], off
	v_lshl_add_u64 v[4:5], s[26:27], 0, v[4:5]
	s_waitcnt vmcnt(1)
	v_subrev_u32_e32 v6, s42, v12
	v_ashrrev_i32_e32 v7, 31, v6
	v_lshlrev_b64 v[6:7], 2, v[6:7]
	v_lshl_add_u64 v[8:9], s[14:15], 0, v[6:7]
	global_load_dword v14, v[8:9], off
	s_waitcnt vmcnt(1)
	v_subrev_u32_e32 v8, s42, v13
	v_ashrrev_i32_e32 v9, 31, v8
	v_lshlrev_b64 v[8:9], 2, v[8:9]
	v_lshl_add_u64 v[10:11], s[14:15], 0, v[8:9]
	global_load_dword v16, v[10:11], off
	v_lshl_add_u64 v[10:11], s[4:5], 0, v[6:7]
	v_lshl_add_u64 v[8:9], s[12:13], 0, v[8:9]
	;; [unrolled: 1-line block ×3, first 2 shown]
	global_load_dword v10, v[10:11], off
	s_waitcnt vmcnt(1)
	v_subrev_u32_e32 v17, s42, v16
	global_load_dword v8, v[8:9], off
	s_nop 0
	global_load_dword v9, v[6:7], off
	global_load_dword v15, v[4:5], off
	v_subrev_u32_e32 v4, s42, v14
	v_ashrrev_i32_e32 v5, 31, v4
	v_lshl_add_u64 v[4:5], v[4:5], 2, s[10:11]
	global_load_dword v14, v[4:5], off
	s_waitcnt vmcnt(4)
	v_subrev_u32_e32 v19, s42, v10
	s_waitcnt vmcnt(3)
	v_cmp_lt_i32_e32 vcc, v8, v16
	s_waitcnt vmcnt(2)
	v_cmp_lt_i32_e64 s[2:3], v9, v10
	v_subrev_u32_e32 v4, s42, v8
	v_subrev_u32_e32 v6, s42, v9
	s_and_b64 s[2:3], vcc, s[2:3]
	v_mov_b32_e32 v16, 0
	s_and_saveexec_b64 s[30:31], s[2:3]
	s_cbranch_execz .LBB1_11
; %bb.6:                                ;   in Loop: Header=BB1_4 Depth=1
	v_mov_b32_e32 v16, 0
	s_mov_b64 s[34:35], 0
	s_branch .LBB1_8
.LBB1_7:                                ;   in Loop: Header=BB1_8 Depth=2
	s_or_b64 exec, exec, s[2:3]
	v_cmp_le_i32_e32 vcc, v8, v9
	s_nop 1
	v_addc_co_u32_e32 v4, vcc, 0, v4, vcc
	v_cmp_ge_i32_e32 vcc, v8, v9
	s_nop 1
	v_addc_co_u32_e32 v6, vcc, 0, v6, vcc
	v_cmp_ge_i32_e32 vcc, v4, v17
	v_cmp_ge_i32_e64 s[2:3], v6, v19
	s_or_b64 s[2:3], vcc, s[2:3]
	s_and_b64 s[2:3], exec, s[2:3]
	s_or_b64 s[34:35], s[2:3], s[34:35]
	s_andn2_b64 exec, exec, s[34:35]
	s_cbranch_execz .LBB1_10
.LBB1_8:                                ;   Parent Loop BB1_4 Depth=1
                                        ; =>  This Inner Loop Header: Depth=2
	v_ashrrev_i32_e32 v5, 31, v4
	v_ashrrev_i32_e32 v7, 31, v6
	v_lshl_add_u64 v[8:9], v[4:5], 2, s[16:17]
	v_lshl_add_u64 v[10:11], v[6:7], 2, s[6:7]
	global_load_dword v8, v[8:9], off
	s_nop 0
	global_load_dword v9, v[10:11], off
	s_waitcnt vmcnt(0)
	v_cmp_eq_u32_e32 vcc, v8, v9
	s_and_saveexec_b64 s[2:3], vcc
	s_cbranch_execz .LBB1_7
; %bb.9:                                ;   in Loop: Header=BB1_8 Depth=2
	v_lshl_add_u64 v[10:11], v[6:7], 2, s[8:9]
	global_load_dword v10, v[10:11], off
	v_lshl_add_u64 v[20:21], v[4:5], 2, s[10:11]
	global_load_dword v5, v[20:21], off
	s_waitcnt vmcnt(1)
	v_ashrrev_i32_e32 v11, 31, v10
	v_lshl_add_u64 v[10:11], v[10:11], 2, s[10:11]
	global_load_dword v7, v[10:11], off
	s_waitcnt vmcnt(0)
	v_fmac_f32_e32 v16, v5, v7
	s_branch .LBB1_7
.LBB1_10:                               ;   in Loop: Header=BB1_4 Depth=1
	s_or_b64 exec, exec, s[34:35]
.LBB1_11:                               ;   in Loop: Header=BB1_4 Depth=1
	s_or_b64 exec, exec, s[30:31]
	s_waitcnt vmcnt(1)
	v_sub_f32_e32 v18, v16, v15
	v_cmp_lt_i32_e32 vcc, v6, v19
	s_and_saveexec_b64 s[2:3], vcc
	s_cbranch_execz .LBB1_19
; %bb.12:                               ;   in Loop: Header=BB1_4 Depth=1
	v_ashrrev_i32_e32 v7, 31, v6
	v_lshl_add_u64 v[8:9], v[6:7], 2, s[6:7]
	s_mov_b64 s[30:31], 0
                                        ; implicit-def: $sgpr34_sgpr35
                                        ; implicit-def: $sgpr38_sgpr39
                                        ; implicit-def: $sgpr36_sgpr37
	s_branch .LBB1_14
.LBB1_13:                               ;   in Loop: Header=BB1_14 Depth=2
	s_or_b64 exec, exec, s[40:41]
	s_and_b64 s[40:41], exec, s[38:39]
	s_or_b64 s[30:31], s[40:41], s[30:31]
	s_andn2_b64 s[34:35], s[34:35], exec
	s_and_b64 s[40:41], s[36:37], exec
	s_or_b64 s[34:35], s[34:35], s[40:41]
	s_andn2_b64 exec, exec, s[30:31]
	s_cbranch_execz .LBB1_16
.LBB1_14:                               ;   Parent Loop BB1_4 Depth=1
                                        ; =>  This Inner Loop Header: Depth=2
	global_load_dword v5, v[8:9], off
	v_mov_b64_e32 v[10:11], v[6:7]
	s_or_b64 s[36:37], s[36:37], exec
	s_or_b64 s[38:39], s[38:39], exec
                                        ; implicit-def: $vgpr6_vgpr7
	s_waitcnt vmcnt(0)
	v_cmp_ne_u32_e32 vcc, v5, v13
	s_and_saveexec_b64 s[40:41], vcc
	s_cbranch_execz .LBB1_13
; %bb.15:                               ;   in Loop: Header=BB1_14 Depth=2
	v_lshl_add_u64 v[6:7], v[10:11], 0, 1
	v_cmp_ge_i32_e32 vcc, v6, v19
	s_andn2_b64 s[38:39], s[38:39], exec
	s_and_b64 s[46:47], vcc, exec
	v_lshl_add_u64 v[8:9], v[8:9], 0, 4
	s_andn2_b64 s[36:37], s[36:37], exec
	s_or_b64 s[38:39], s[38:39], s[46:47]
	s_branch .LBB1_13
.LBB1_16:                               ;   in Loop: Header=BB1_4 Depth=1
	s_or_b64 exec, exec, s[30:31]
	s_and_saveexec_b64 s[30:31], s[34:35]
	s_xor_b64 s[30:31], exec, s[30:31]
	s_cbranch_execz .LBB1_18
; %bb.17:                               ;   in Loop: Header=BB1_4 Depth=1
	v_lshl_add_u64 v[6:7], v[10:11], 2, s[8:9]
	global_load_dword v6, v[6:7], off
	s_waitcnt vmcnt(0)
	v_ashrrev_i32_e32 v7, 31, v6
	v_lshl_add_u64 v[6:7], v[6:7], 2, s[10:11]
	global_load_dword v5, v[6:7], off
	s_waitcnt vmcnt(0)
	v_add_f32_e32 v18, v18, v5
.LBB1_18:                               ;   in Loop: Header=BB1_4 Depth=1
	s_or_b64 exec, exec, s[30:31]
.LBB1_19:                               ;   in Loop: Header=BB1_4 Depth=1
	s_or_b64 exec, exec, s[2:3]
	v_cmp_lt_i32_e32 vcc, v4, v17
	s_and_saveexec_b64 s[2:3], vcc
	s_cbranch_execz .LBB1_27
; %bb.20:                               ;   in Loop: Header=BB1_4 Depth=1
	v_ashrrev_i32_e32 v5, 31, v4
	v_lshl_add_u64 v[6:7], v[4:5], 2, s[16:17]
	s_mov_b64 s[30:31], 0
                                        ; implicit-def: $sgpr34_sgpr35
                                        ; implicit-def: $sgpr38_sgpr39
                                        ; implicit-def: $sgpr36_sgpr37
	s_branch .LBB1_22
.LBB1_21:                               ;   in Loop: Header=BB1_22 Depth=2
	s_or_b64 exec, exec, s[40:41]
	s_and_b64 s[40:41], exec, s[38:39]
	s_or_b64 s[30:31], s[40:41], s[30:31]
	s_andn2_b64 s[34:35], s[34:35], exec
	s_and_b64 s[40:41], s[36:37], exec
	s_or_b64 s[34:35], s[34:35], s[40:41]
	s_andn2_b64 exec, exec, s[30:31]
	s_cbranch_execz .LBB1_24
.LBB1_22:                               ;   Parent Loop BB1_4 Depth=1
                                        ; =>  This Inner Loop Header: Depth=2
	global_load_dword v10, v[6:7], off
	v_mov_b64_e32 v[8:9], v[4:5]
	s_or_b64 s[36:37], s[36:37], exec
	s_or_b64 s[38:39], s[38:39], exec
                                        ; implicit-def: $vgpr4_vgpr5
	s_waitcnt vmcnt(0)
	v_cmp_ne_u32_e32 vcc, v10, v12
	s_and_saveexec_b64 s[40:41], vcc
	s_cbranch_execz .LBB1_21
; %bb.23:                               ;   in Loop: Header=BB1_22 Depth=2
	v_lshl_add_u64 v[4:5], v[8:9], 0, 1
	v_cmp_ge_i32_e32 vcc, v4, v17
	s_andn2_b64 s[38:39], s[38:39], exec
	s_and_b64 s[46:47], vcc, exec
	v_lshl_add_u64 v[6:7], v[6:7], 0, 4
	s_andn2_b64 s[36:37], s[36:37], exec
	s_or_b64 s[38:39], s[38:39], s[46:47]
	s_branch .LBB1_21
.LBB1_24:                               ;   in Loop: Header=BB1_4 Depth=1
	s_or_b64 exec, exec, s[30:31]
	s_and_saveexec_b64 s[30:31], s[34:35]
	s_xor_b64 s[30:31], exec, s[30:31]
	s_cbranch_execz .LBB1_26
; %bb.25:                               ;   in Loop: Header=BB1_4 Depth=1
	v_lshl_add_u64 v[4:5], v[8:9], 2, s[10:11]
	global_load_dword v4, v[4:5], off
	s_waitcnt vmcnt(0)
	v_fmac_f32_e32 v18, v4, v14
.LBB1_26:                               ;   in Loop: Header=BB1_4 Depth=1
	s_or_b64 exec, exec, s[30:31]
.LBB1_27:                               ;   in Loop: Header=BB1_4 Depth=1
	s_or_b64 exec, exec, s[2:3]
	v_sub_f32_e32 v4, v15, v16
	s_waitcnt vmcnt(0)
	v_div_scale_f32 v5, s[2:3], v14, v14, v4
	v_rcp_f32_e32 v6, v5
	v_div_scale_f32 v7, vcc, v4, v14, v4
	v_fma_f32 v8, -v5, v6, 1.0
	v_fmac_f32_e32 v6, v8, v6
	v_mul_f32_e32 v8, v7, v6
	v_fma_f32 v9, -v5, v8, v7
	v_fmac_f32_e32 v8, v9, v6
	v_fma_f32 v5, -v5, v8, v7
	v_div_fmas_f32 v5, v5, v6, v8
	v_div_fixup_f32 v5, v5, v14, v4
	v_cmp_gt_i32_e32 vcc, v13, v12
	s_nop 1
	v_cndmask_b32_e32 v4, v4, v5, vcc
	v_add_f32_e32 v5, v14, v18
	v_cmp_eq_u32_e32 vcc, v13, v12
	v_cmp_class_f32_e64 s[36:37], v4, s45
	s_nop 0
	v_cndmask_b32_e32 v5, v18, v5, vcc
	v_cmp_nlg_f32_e64 s[2:3], |v5|, s44
	v_cmp_gt_f32_e64 s[30:31], v1, |v5|
	s_and_saveexec_b64 s[34:35], s[36:37]
	s_cbranch_execz .LBB1_2
; %bb.28:                               ;   in Loop: Header=BB1_4 Depth=1
	v_lshl_add_u64 v[6:7], v[2:3], 2, s[10:11]
	global_store_dword v[6:7], v4, off
	s_branch .LBB1_2
.LBB1_29:
	s_or_b64 exec, exec, s[24:25]
	v_mov_b32_dpp v2, v1 row_shr:1 row_mask:0xf bank_mask:0xf
	v_cmp_lt_f32_e32 vcc, v1, v2
	v_and_b32_e32 v3, 63, v0
	s_nop 0
	v_cndmask_b32_e32 v1, v1, v2, vcc
	s_nop 1
	v_mov_b32_dpp v2, v1 row_shr:2 row_mask:0xf bank_mask:0xf
	v_cmp_lt_f32_e32 vcc, v1, v2
	s_nop 1
	v_cndmask_b32_e32 v1, v1, v2, vcc
	s_nop 1
	v_mov_b32_dpp v2, v1 row_shr:4 row_mask:0xf bank_mask:0xe
	v_cmp_lt_f32_e32 vcc, v1, v2
	s_nop 1
	v_cndmask_b32_e32 v1, v1, v2, vcc
	s_nop 1
	v_mov_b32_dpp v2, v1 row_shr:8 row_mask:0xf bank_mask:0xc
	v_cmp_lt_f32_e32 vcc, v1, v2
	s_nop 1
	v_cndmask_b32_e32 v1, v1, v2, vcc
	s_nop 1
	v_mov_b32_dpp v2, v1 row_bcast:15 row_mask:0xa bank_mask:0xf
	v_cmp_lt_f32_e32 vcc, v1, v2
	s_nop 1
	v_cndmask_b32_e32 v1, v1, v2, vcc
	v_cmp_eq_u32_e32 vcc, 63, v3
	s_nop 0
	v_mov_b32_dpp v2, v1 row_bcast:31 row_mask:0xc bank_mask:0xf
	s_and_saveexec_b64 s[2:3], vcc
; %bb.30:
	v_lshrrev_b32_e32 v3, 4, v0
	v_cmp_lt_f32_e32 vcc, v1, v2
	v_and_b32_e32 v3, 60, v3
	s_nop 0
	v_cndmask_b32_e32 v1, v1, v2, vcc
	ds_write_b32 v3, v1
; %bb.31:
	s_or_b64 exec, exec, s[2:3]
	v_cmp_gt_u32_e32 vcc, 8, v0
	v_lshlrev_b32_e32 v1, 2, v0
	s_waitcnt lgkmcnt(0)
	s_barrier
	s_and_saveexec_b64 s[2:3], vcc
	s_cbranch_execz .LBB1_33
; %bb.32:
	ds_read2_b32 v[2:3], v1 offset1:8
	s_waitcnt lgkmcnt(0)
	v_cmp_lt_f32_e32 vcc, v2, v3
	s_nop 1
	v_cndmask_b32_e32 v2, v2, v3, vcc
	ds_write_b32 v1, v2
.LBB1_33:
	s_or_b64 exec, exec, s[2:3]
	v_cmp_gt_u32_e32 vcc, 4, v0
	s_waitcnt lgkmcnt(0)
	s_barrier
	s_and_saveexec_b64 s[2:3], vcc
	s_cbranch_execz .LBB1_35
; %bb.34:
	ds_read2_b32 v[2:3], v1 offset1:4
	s_waitcnt lgkmcnt(0)
	v_cmp_lt_f32_e32 vcc, v2, v3
	s_nop 1
	v_cndmask_b32_e32 v2, v2, v3, vcc
	ds_write_b32 v1, v2
.LBB1_35:
	s_or_b64 exec, exec, s[2:3]
	v_cmp_gt_u32_e32 vcc, 2, v0
	s_waitcnt lgkmcnt(0)
	s_barrier
	s_and_saveexec_b64 s[2:3], vcc
	s_cbranch_execz .LBB1_37
; %bb.36:
	ds_read2_b32 v[2:3], v1 offset1:2
	s_waitcnt lgkmcnt(0)
	v_cmp_lt_f32_e32 vcc, v2, v3
	s_nop 1
	v_cndmask_b32_e32 v2, v2, v3, vcc
	ds_write_b32 v1, v2
.LBB1_37:
	s_or_b64 exec, exec, s[2:3]
	v_cmp_eq_u32_e32 vcc, 0, v0
	s_waitcnt lgkmcnt(0)
	s_barrier
	s_and_saveexec_b64 s[4:5], vcc
	s_cbranch_execz .LBB1_39
; %bb.38:
	v_mov_b32_e32 v2, 0
	ds_read_b64 v[0:1], v2
	s_waitcnt lgkmcnt(0)
	v_cmp_lt_f32_e64 s[2:3], v0, v1
	s_nop 1
	v_cndmask_b32_e64 v0, v0, v1, s[2:3]
	ds_write_b32 v2, v0
.LBB1_39:
	s_or_b64 exec, exec, s[4:5]
	s_waitcnt lgkmcnt(0)
	s_barrier
	s_and_saveexec_b64 s[2:3], vcc
	s_cbranch_execz .LBB1_43
; %bb.40:
	v_mbcnt_lo_u32_b32 v0, exec_lo, 0
	v_mbcnt_hi_u32_b32 v0, exec_hi, v0
	v_cmp_eq_u32_e32 vcc, 0, v0
	s_and_b64 exec, exec, vcc
	s_cbranch_execz .LBB1_43
; %bb.41:
	s_load_dwordx4 s[4:7], s[0:1], 0x68
	v_mov_b32_e32 v2, 0
	ds_read_b32 v0, v2
	s_mov_b64 s[0:1], 0
	s_waitcnt lgkmcnt(0)
	s_load_dword s6, s[6:7], 0x0
	s_waitcnt lgkmcnt(0)
	v_div_scale_f32 v1, s[2:3], s6, s6, v0
	v_rcp_f32_e32 v3, v1
	v_div_scale_f32 v4, vcc, v0, s6, v0
	s_load_dword s2, s[4:5], 0x0
	v_fma_f32 v5, -v1, v3, 1.0
	v_fmac_f32_e32 v3, v5, v3
	v_mul_f32_e32 v5, v4, v3
	v_fma_f32 v6, -v1, v5, v4
	v_fmac_f32_e32 v5, v6, v3
	v_fma_f32 v1, -v1, v5, v4
	v_div_fmas_f32 v1, v1, v3, v5
	v_div_fixup_f32 v0, v1, s6, v0
	s_waitcnt lgkmcnt(0)
	v_mov_b32_e32 v1, s2
	v_max_f32_e32 v3, v0, v0
.LBB1_42:                               ; =>This Inner Loop Header: Depth=1
	v_max_f32_e32 v0, v1, v1
	v_max_f32_e32 v0, v0, v3
	global_atomic_cmpswap v0, v2, v[0:1], s[4:5] sc0
	s_waitcnt vmcnt(0)
	v_cmp_eq_u32_e32 vcc, v0, v1
	s_or_b64 s[0:1], vcc, s[0:1]
	v_mov_b32_e32 v1, v0
	s_andn2_b64 exec, exec, s[0:1]
	s_cbranch_execnz .LBB1_42
.LBB1_43:
	s_endpgm
	.section	.rodata,"a",@progbits
	.p2align	6, 0x0
	.amdhsa_kernel _ZN9rocsparseL20kernel_calculate_cooILi1024ELi64ELb1EfiiEEvT4_T3_PKS1_S4_PKT2_21rocsparse_index_base_PKS2_SA_S4_SA_SA_S4_SA_PS5_PNS_15floating_traitsIS5_E6data_tEPKSE_
		.amdhsa_group_segment_fixed_size 64
		.amdhsa_private_segment_fixed_size 0
		.amdhsa_kernarg_size 120
		.amdhsa_user_sgpr_count 2
		.amdhsa_user_sgpr_dispatch_ptr 0
		.amdhsa_user_sgpr_queue_ptr 0
		.amdhsa_user_sgpr_kernarg_segment_ptr 1
		.amdhsa_user_sgpr_dispatch_id 0
		.amdhsa_user_sgpr_kernarg_preload_length 0
		.amdhsa_user_sgpr_kernarg_preload_offset 0
		.amdhsa_user_sgpr_private_segment_size 0
		.amdhsa_uses_dynamic_stack 0
		.amdhsa_enable_private_segment 0
		.amdhsa_system_sgpr_workgroup_id_x 1
		.amdhsa_system_sgpr_workgroup_id_y 0
		.amdhsa_system_sgpr_workgroup_id_z 0
		.amdhsa_system_sgpr_workgroup_info 0
		.amdhsa_system_vgpr_workitem_id 0
		.amdhsa_next_free_vgpr 22
		.amdhsa_next_free_sgpr 48
		.amdhsa_accum_offset 24
		.amdhsa_reserve_vcc 1
		.amdhsa_float_round_mode_32 0
		.amdhsa_float_round_mode_16_64 0
		.amdhsa_float_denorm_mode_32 3
		.amdhsa_float_denorm_mode_16_64 3
		.amdhsa_dx10_clamp 1
		.amdhsa_ieee_mode 1
		.amdhsa_fp16_overflow 0
		.amdhsa_tg_split 0
		.amdhsa_exception_fp_ieee_invalid_op 0
		.amdhsa_exception_fp_denorm_src 0
		.amdhsa_exception_fp_ieee_div_zero 0
		.amdhsa_exception_fp_ieee_overflow 0
		.amdhsa_exception_fp_ieee_underflow 0
		.amdhsa_exception_fp_ieee_inexact 0
		.amdhsa_exception_int_div_zero 0
	.end_amdhsa_kernel
	.section	.text._ZN9rocsparseL20kernel_calculate_cooILi1024ELi64ELb1EfiiEEvT4_T3_PKS1_S4_PKT2_21rocsparse_index_base_PKS2_SA_S4_SA_SA_S4_SA_PS5_PNS_15floating_traitsIS5_E6data_tEPKSE_,"axG",@progbits,_ZN9rocsparseL20kernel_calculate_cooILi1024ELi64ELb1EfiiEEvT4_T3_PKS1_S4_PKT2_21rocsparse_index_base_PKS2_SA_S4_SA_SA_S4_SA_PS5_PNS_15floating_traitsIS5_E6data_tEPKSE_,comdat
.Lfunc_end1:
	.size	_ZN9rocsparseL20kernel_calculate_cooILi1024ELi64ELb1EfiiEEvT4_T3_PKS1_S4_PKT2_21rocsparse_index_base_PKS2_SA_S4_SA_SA_S4_SA_PS5_PNS_15floating_traitsIS5_E6data_tEPKSE_, .Lfunc_end1-_ZN9rocsparseL20kernel_calculate_cooILi1024ELi64ELb1EfiiEEvT4_T3_PKS1_S4_PKT2_21rocsparse_index_base_PKS2_SA_S4_SA_SA_S4_SA_PS5_PNS_15floating_traitsIS5_E6data_tEPKSE_
                                        ; -- End function
	.set _ZN9rocsparseL20kernel_calculate_cooILi1024ELi64ELb1EfiiEEvT4_T3_PKS1_S4_PKT2_21rocsparse_index_base_PKS2_SA_S4_SA_SA_S4_SA_PS5_PNS_15floating_traitsIS5_E6data_tEPKSE_.num_vgpr, 22
	.set _ZN9rocsparseL20kernel_calculate_cooILi1024ELi64ELb1EfiiEEvT4_T3_PKS1_S4_PKT2_21rocsparse_index_base_PKS2_SA_S4_SA_SA_S4_SA_PS5_PNS_15floating_traitsIS5_E6data_tEPKSE_.num_agpr, 0
	.set _ZN9rocsparseL20kernel_calculate_cooILi1024ELi64ELb1EfiiEEvT4_T3_PKS1_S4_PKT2_21rocsparse_index_base_PKS2_SA_S4_SA_SA_S4_SA_PS5_PNS_15floating_traitsIS5_E6data_tEPKSE_.numbered_sgpr, 48
	.set _ZN9rocsparseL20kernel_calculate_cooILi1024ELi64ELb1EfiiEEvT4_T3_PKS1_S4_PKT2_21rocsparse_index_base_PKS2_SA_S4_SA_SA_S4_SA_PS5_PNS_15floating_traitsIS5_E6data_tEPKSE_.num_named_barrier, 0
	.set _ZN9rocsparseL20kernel_calculate_cooILi1024ELi64ELb1EfiiEEvT4_T3_PKS1_S4_PKT2_21rocsparse_index_base_PKS2_SA_S4_SA_SA_S4_SA_PS5_PNS_15floating_traitsIS5_E6data_tEPKSE_.private_seg_size, 0
	.set _ZN9rocsparseL20kernel_calculate_cooILi1024ELi64ELb1EfiiEEvT4_T3_PKS1_S4_PKT2_21rocsparse_index_base_PKS2_SA_S4_SA_SA_S4_SA_PS5_PNS_15floating_traitsIS5_E6data_tEPKSE_.uses_vcc, 1
	.set _ZN9rocsparseL20kernel_calculate_cooILi1024ELi64ELb1EfiiEEvT4_T3_PKS1_S4_PKT2_21rocsparse_index_base_PKS2_SA_S4_SA_SA_S4_SA_PS5_PNS_15floating_traitsIS5_E6data_tEPKSE_.uses_flat_scratch, 0
	.set _ZN9rocsparseL20kernel_calculate_cooILi1024ELi64ELb1EfiiEEvT4_T3_PKS1_S4_PKT2_21rocsparse_index_base_PKS2_SA_S4_SA_SA_S4_SA_PS5_PNS_15floating_traitsIS5_E6data_tEPKSE_.has_dyn_sized_stack, 0
	.set _ZN9rocsparseL20kernel_calculate_cooILi1024ELi64ELb1EfiiEEvT4_T3_PKS1_S4_PKT2_21rocsparse_index_base_PKS2_SA_S4_SA_SA_S4_SA_PS5_PNS_15floating_traitsIS5_E6data_tEPKSE_.has_recursion, 0
	.set _ZN9rocsparseL20kernel_calculate_cooILi1024ELi64ELb1EfiiEEvT4_T3_PKS1_S4_PKT2_21rocsparse_index_base_PKS2_SA_S4_SA_SA_S4_SA_PS5_PNS_15floating_traitsIS5_E6data_tEPKSE_.has_indirect_call, 0
	.section	.AMDGPU.csdata,"",@progbits
; Kernel info:
; codeLenInByte = 1836
; TotalNumSgprs: 54
; NumVgprs: 22
; NumAgprs: 0
; TotalNumVgprs: 22
; ScratchSize: 0
; MemoryBound: 0
; FloatMode: 240
; IeeeMode: 1
; LDSByteSize: 64 bytes/workgroup (compile time only)
; SGPRBlocks: 6
; VGPRBlocks: 2
; NumSGPRsForWavesPerEU: 54
; NumVGPRsForWavesPerEU: 22
; AccumOffset: 24
; Occupancy: 8
; WaveLimiterHint : 1
; COMPUTE_PGM_RSRC2:SCRATCH_EN: 0
; COMPUTE_PGM_RSRC2:USER_SGPR: 2
; COMPUTE_PGM_RSRC2:TRAP_HANDLER: 0
; COMPUTE_PGM_RSRC2:TGID_X_EN: 1
; COMPUTE_PGM_RSRC2:TGID_Y_EN: 0
; COMPUTE_PGM_RSRC2:TGID_Z_EN: 0
; COMPUTE_PGM_RSRC2:TIDIG_COMP_CNT: 0
; COMPUTE_PGM_RSRC3_GFX90A:ACCUM_OFFSET: 5
; COMPUTE_PGM_RSRC3_GFX90A:TG_SPLIT: 0
	.section	.text._ZN9rocsparseL16kernel_calculateILi1024ELi1ELb1EfiiEEvT4_T3_PKS2_S4_PKS1_PKT2_21rocsparse_index_base_S4_S4_S6_S4_S4_S6_S4_PS7_PNS_15floating_traitsIS7_E6data_tEPKSE_,"axG",@progbits,_ZN9rocsparseL16kernel_calculateILi1024ELi1ELb1EfiiEEvT4_T3_PKS2_S4_PKS1_PKT2_21rocsparse_index_base_S4_S4_S6_S4_S4_S6_S4_PS7_PNS_15floating_traitsIS7_E6data_tEPKSE_,comdat
	.globl	_ZN9rocsparseL16kernel_calculateILi1024ELi1ELb1EfiiEEvT4_T3_PKS2_S4_PKS1_PKT2_21rocsparse_index_base_S4_S4_S6_S4_S4_S6_S4_PS7_PNS_15floating_traitsIS7_E6data_tEPKSE_ ; -- Begin function _ZN9rocsparseL16kernel_calculateILi1024ELi1ELb1EfiiEEvT4_T3_PKS2_S4_PKS1_PKT2_21rocsparse_index_base_S4_S4_S6_S4_S4_S6_S4_PS7_PNS_15floating_traitsIS7_E6data_tEPKSE_
	.p2align	8
	.type	_ZN9rocsparseL16kernel_calculateILi1024ELi1ELb1EfiiEEvT4_T3_PKS2_S4_PKS1_PKT2_21rocsparse_index_base_S4_S4_S6_S4_S4_S6_S4_PS7_PNS_15floating_traitsIS7_E6data_tEPKSE_,@function
_ZN9rocsparseL16kernel_calculateILi1024ELi1ELb1EfiiEEvT4_T3_PKS2_S4_PKS1_PKT2_21rocsparse_index_base_S4_S4_S6_S4_S4_S6_S4_PS7_PNS_15floating_traitsIS7_E6data_tEPKSE_: ; @_ZN9rocsparseL16kernel_calculateILi1024ELi1ELb1EfiiEEvT4_T3_PKS2_S4_PKS1_PKT2_21rocsparse_index_base_S4_S4_S6_S4_S4_S6_S4_PS7_PNS_15floating_traitsIS7_E6data_tEPKSE_
; %bb.0:
	s_load_dword s3, s[0:1], 0x0
	v_lshl_or_b32 v2, s2, 10, v0
	v_mov_b32_e32 v1, 0
	s_waitcnt lgkmcnt(0)
	v_cmp_gt_i32_e32 vcc, s3, v2
	s_and_saveexec_b64 s[24:25], vcc
	s_cbranch_execz .LBB2_30
; %bb.1:
	s_load_dwordx4 s[4:7], s[0:1], 0x8
	v_ashrrev_i32_e32 v3, 31, v2
	v_lshlrev_b64 v[4:5], 2, v[2:3]
	v_mov_b32_e32 v1, 0
	s_waitcnt lgkmcnt(0)
	v_lshl_add_u64 v[8:9], s[6:7], 0, v[4:5]
	v_lshl_add_u64 v[10:11], s[4:5], 0, v[4:5]
	global_load_dword v3, v[8:9], off
	global_load_dword v6, v[10:11], off
	s_waitcnt vmcnt(0)
	v_cmp_lt_i32_e32 vcc, v6, v3
	s_and_saveexec_b64 s[26:27], vcc
	s_cbranch_execz .LBB2_29
; %bb.2:
	s_load_dwordx8 s[4:11], s[0:1], 0x30
	v_mov_b32_e32 v1, 0
	s_mov_b64 s[28:29], 0
	s_movk_i32 s42, 0x1f8
	s_mov_b32 s43, 0x7f800000
	s_waitcnt lgkmcnt(0)
	v_lshl_add_u64 v[8:9], s[4:5], 0, v[4:5]
	v_lshl_add_u64 v[4:5], s[6:7], 0, v[4:5]
	global_load_dword v7, v[4:5], off
	global_load_dword v10, v[8:9], off
	s_load_dwordx4 s[20:23], s[0:1], 0x18
	s_load_dword s33, s[0:1], 0x28
	s_load_dwordx8 s[12:19], s[0:1], 0x50
	s_waitcnt lgkmcnt(0)
	v_subrev_u32_e32 v3, s33, v3
	v_subrev_u32_e32 v4, s33, v6
	s_waitcnt vmcnt(1)
	v_subrev_u32_e32 v16, s33, v7
	s_waitcnt vmcnt(0)
	v_subrev_u32_e32 v17, s33, v10
	v_cmp_lt_i32_e64 s[2:3], v10, v7
	s_branch .LBB2_4
.LBB2_3:                                ;   in Loop: Header=BB2_4 Depth=1
	s_or_b64 exec, exec, s[4:5]
	v_add_f32_e32 v5, v7, v21
	v_cmp_eq_u32_e32 vcc, v2, v6
	v_add_u32_e32 v4, 1, v4
	s_nop 0
	v_cndmask_b32_e32 v5, v21, v5, vcc
	v_cmp_nlg_f32_e64 s[4:5], |v5|, s43
	v_cmp_gt_f32_e64 s[30:31], v1, |v5|
	s_or_b64 s[4:5], s[4:5], s[30:31]
	v_cmp_ge_i32_e32 vcc, v4, v3
	s_or_b64 s[28:29], vcc, s[28:29]
	v_cndmask_b32_e64 v1, |v5|, v1, s[4:5]
	s_andn2_b64 exec, exec, s[28:29]
	s_cbranch_execz .LBB2_28
.LBB2_4:                                ; =>This Loop Header: Depth=1
                                        ;     Child Loop BB2_7 Depth 2
                                        ;     Child Loop BB2_13 Depth 2
	;; [unrolled: 1-line block ×3, first 2 shown]
	v_ashrrev_i32_e32 v5, 31, v4
	v_lshlrev_b64 v[8:9], 2, v[4:5]
	v_lshl_add_u64 v[6:7], s[20:21], 0, v[8:9]
	global_load_dword v19, v[6:7], off
	v_lshl_add_u64 v[8:9], s[22:23], 0, v[8:9]
	v_mov_b32_e32 v20, 0
	s_waitcnt vmcnt(0)
	v_subrev_u32_e32 v6, s33, v19
	v_ashrrev_i32_e32 v7, 31, v6
	v_lshlrev_b64 v[10:11], 2, v[6:7]
	v_lshl_add_u64 v[12:13], s[6:7], 0, v[10:11]
	global_load_dword v7, v[12:13], off
	v_lshl_add_u64 v[12:13], s[12:13], 0, v[10:11]
	v_lshl_add_u64 v[10:11], s[10:11], 0, v[10:11]
	global_load_dword v12, v[12:13], off
	s_nop 0
	global_load_dword v13, v[10:11], off
	global_load_dword v18, v[8:9], off
	s_waitcnt vmcnt(3)
	v_subrev_u32_e32 v8, s33, v7
	v_ashrrev_i32_e32 v9, 31, v8
	v_lshl_add_u64 v[8:9], v[8:9], 2, s[18:19]
	global_load_dword v7, v[8:9], off
	s_waitcnt vmcnt(2)
	v_cmp_lt_i32_e32 vcc, v13, v12
	v_subrev_u32_e32 v22, s33, v12
	v_subrev_u32_e32 v10, s33, v13
	s_and_b64 s[4:5], s[2:3], vcc
	v_mov_b32_e32 v8, v17
	s_and_saveexec_b64 s[30:31], s[4:5]
	s_cbranch_execz .LBB2_10
; %bb.5:                                ;   in Loop: Header=BB2_4 Depth=1
	v_mov_b32_e32 v20, 0
	s_mov_b64 s[34:35], 0
	v_mov_b32_e32 v8, v17
	s_branch .LBB2_7
.LBB2_6:                                ;   in Loop: Header=BB2_7 Depth=2
	s_or_b64 exec, exec, s[4:5]
	v_cmp_le_i32_e32 vcc, v12, v13
	s_nop 1
	v_addc_co_u32_e32 v8, vcc, 0, v8, vcc
	v_cmp_ge_i32_e32 vcc, v12, v13
	s_nop 1
	v_addc_co_u32_e32 v10, vcc, 0, v10, vcc
	v_cmp_ge_i32_e32 vcc, v8, v16
	v_cmp_ge_i32_e64 s[4:5], v10, v22
	s_or_b64 s[4:5], vcc, s[4:5]
	s_and_b64 s[4:5], exec, s[4:5]
	s_or_b64 s[34:35], s[4:5], s[34:35]
	s_andn2_b64 exec, exec, s[34:35]
	s_cbranch_execz .LBB2_9
.LBB2_7:                                ;   Parent Loop BB2_4 Depth=1
                                        ; =>  This Inner Loop Header: Depth=2
	v_ashrrev_i32_e32 v9, 31, v8
	v_ashrrev_i32_e32 v11, 31, v10
	v_lshl_add_u64 v[12:13], v[8:9], 2, s[8:9]
	v_lshl_add_u64 v[14:15], v[10:11], 2, s[14:15]
	global_load_dword v12, v[12:13], off
	s_nop 0
	global_load_dword v13, v[14:15], off
	s_waitcnt vmcnt(0)
	v_cmp_eq_u32_e32 vcc, v12, v13
	s_and_saveexec_b64 s[4:5], vcc
	s_cbranch_execz .LBB2_6
; %bb.8:                                ;   in Loop: Header=BB2_7 Depth=2
	v_lshl_add_u64 v[14:15], v[10:11], 2, s[16:17]
	global_load_dword v14, v[14:15], off
	v_lshl_add_u64 v[24:25], v[8:9], 2, s[18:19]
	global_load_dword v9, v[24:25], off
	s_waitcnt vmcnt(1)
	v_ashrrev_i32_e32 v15, 31, v14
	v_lshl_add_u64 v[14:15], v[14:15], 2, s[18:19]
	global_load_dword v11, v[14:15], off
	s_waitcnt vmcnt(0)
	v_fmac_f32_e32 v20, v9, v11
	s_branch .LBB2_6
.LBB2_9:                                ;   in Loop: Header=BB2_4 Depth=1
	s_or_b64 exec, exec, s[34:35]
.LBB2_10:                               ;   in Loop: Header=BB2_4 Depth=1
	s_or_b64 exec, exec, s[30:31]
	s_waitcnt vmcnt(1)
	v_sub_f32_e32 v21, v20, v18
	v_cmp_lt_i32_e32 vcc, v10, v22
	s_and_saveexec_b64 s[4:5], vcc
	s_cbranch_execz .LBB2_18
; %bb.11:                               ;   in Loop: Header=BB2_4 Depth=1
	v_ashrrev_i32_e32 v11, 31, v10
	v_lshl_add_u64 v[12:13], v[10:11], 2, s[14:15]
	s_mov_b64 s[30:31], 0
                                        ; implicit-def: $sgpr34_sgpr35
                                        ; implicit-def: $sgpr38_sgpr39
                                        ; implicit-def: $sgpr36_sgpr37
	s_branch .LBB2_13
.LBB2_12:                               ;   in Loop: Header=BB2_13 Depth=2
	s_or_b64 exec, exec, s[40:41]
	s_and_b64 s[40:41], exec, s[38:39]
	s_or_b64 s[30:31], s[40:41], s[30:31]
	s_andn2_b64 s[34:35], s[34:35], exec
	s_and_b64 s[40:41], s[36:37], exec
	s_or_b64 s[34:35], s[34:35], s[40:41]
	s_andn2_b64 exec, exec, s[30:31]
	s_cbranch_execz .LBB2_15
.LBB2_13:                               ;   Parent Loop BB2_4 Depth=1
                                        ; =>  This Inner Loop Header: Depth=2
	global_load_dword v9, v[12:13], off
	v_mov_b64_e32 v[14:15], v[10:11]
	s_or_b64 s[36:37], s[36:37], exec
	s_or_b64 s[38:39], s[38:39], exec
                                        ; implicit-def: $vgpr10_vgpr11
	s_waitcnt vmcnt(0)
	v_subrev_u32_e32 v9, s33, v9
	v_cmp_ne_u32_e32 vcc, v9, v2
	s_and_saveexec_b64 s[40:41], vcc
	s_cbranch_execz .LBB2_12
; %bb.14:                               ;   in Loop: Header=BB2_13 Depth=2
	v_lshl_add_u64 v[10:11], v[14:15], 0, 1
	v_cmp_ge_i32_e32 vcc, v10, v22
	s_andn2_b64 s[38:39], s[38:39], exec
	s_and_b64 s[44:45], vcc, exec
	v_lshl_add_u64 v[12:13], v[12:13], 0, 4
	s_andn2_b64 s[36:37], s[36:37], exec
	s_or_b64 s[38:39], s[38:39], s[44:45]
	s_branch .LBB2_12
.LBB2_15:                               ;   in Loop: Header=BB2_4 Depth=1
	s_or_b64 exec, exec, s[30:31]
	s_and_saveexec_b64 s[30:31], s[34:35]
	s_xor_b64 s[30:31], exec, s[30:31]
	s_cbranch_execz .LBB2_17
; %bb.16:                               ;   in Loop: Header=BB2_4 Depth=1
	v_lshl_add_u64 v[10:11], v[14:15], 2, s[16:17]
	global_load_dword v10, v[10:11], off
	s_waitcnt vmcnt(0)
	v_ashrrev_i32_e32 v11, 31, v10
	v_lshl_add_u64 v[10:11], v[10:11], 2, s[18:19]
	global_load_dword v9, v[10:11], off
	s_waitcnt vmcnt(0)
	v_add_f32_e32 v21, v21, v9
.LBB2_17:                               ;   in Loop: Header=BB2_4 Depth=1
	s_or_b64 exec, exec, s[30:31]
.LBB2_18:                               ;   in Loop: Header=BB2_4 Depth=1
	s_or_b64 exec, exec, s[4:5]
	v_cmp_lt_i32_e32 vcc, v8, v16
	s_and_saveexec_b64 s[4:5], vcc
	s_cbranch_execz .LBB2_26
; %bb.19:                               ;   in Loop: Header=BB2_4 Depth=1
	v_ashrrev_i32_e32 v9, 31, v8
	v_lshl_add_u64 v[10:11], v[8:9], 2, s[8:9]
	s_mov_b64 s[30:31], 0
                                        ; implicit-def: $sgpr34_sgpr35
                                        ; implicit-def: $sgpr38_sgpr39
                                        ; implicit-def: $sgpr36_sgpr37
	s_branch .LBB2_21
.LBB2_20:                               ;   in Loop: Header=BB2_21 Depth=2
	s_or_b64 exec, exec, s[40:41]
	s_and_b64 s[40:41], exec, s[38:39]
	s_or_b64 s[30:31], s[40:41], s[30:31]
	s_andn2_b64 s[34:35], s[34:35], exec
	s_and_b64 s[40:41], s[36:37], exec
	s_or_b64 s[34:35], s[34:35], s[40:41]
	s_andn2_b64 exec, exec, s[30:31]
	s_cbranch_execz .LBB2_23
.LBB2_21:                               ;   Parent Loop BB2_4 Depth=1
                                        ; =>  This Inner Loop Header: Depth=2
	global_load_dword v14, v[10:11], off
	v_mov_b64_e32 v[12:13], v[8:9]
	s_or_b64 s[36:37], s[36:37], exec
	s_or_b64 s[38:39], s[38:39], exec
                                        ; implicit-def: $vgpr8_vgpr9
	s_waitcnt vmcnt(0)
	v_cmp_ne_u32_e32 vcc, v14, v19
	s_and_saveexec_b64 s[40:41], vcc
	s_cbranch_execz .LBB2_20
; %bb.22:                               ;   in Loop: Header=BB2_21 Depth=2
	v_lshl_add_u64 v[8:9], v[12:13], 0, 1
	v_cmp_ge_i32_e32 vcc, v8, v16
	s_andn2_b64 s[38:39], s[38:39], exec
	s_and_b64 s[44:45], vcc, exec
	v_lshl_add_u64 v[10:11], v[10:11], 0, 4
	s_andn2_b64 s[36:37], s[36:37], exec
	s_or_b64 s[38:39], s[38:39], s[44:45]
	s_branch .LBB2_20
.LBB2_23:                               ;   in Loop: Header=BB2_4 Depth=1
	s_or_b64 exec, exec, s[30:31]
	s_and_saveexec_b64 s[30:31], s[34:35]
	s_xor_b64 s[30:31], exec, s[30:31]
	s_cbranch_execz .LBB2_25
; %bb.24:                               ;   in Loop: Header=BB2_4 Depth=1
	v_lshl_add_u64 v[8:9], v[12:13], 2, s[18:19]
	global_load_dword v8, v[8:9], off
	s_waitcnt vmcnt(0)
	v_fmac_f32_e32 v21, v8, v7
.LBB2_25:                               ;   in Loop: Header=BB2_4 Depth=1
	s_or_b64 exec, exec, s[30:31]
.LBB2_26:                               ;   in Loop: Header=BB2_4 Depth=1
	s_or_b64 exec, exec, s[4:5]
	v_sub_f32_e32 v8, v18, v20
	s_waitcnt vmcnt(0)
	v_div_scale_f32 v9, s[4:5], v7, v7, v8
	v_rcp_f32_e32 v10, v9
	v_div_scale_f32 v11, vcc, v8, v7, v8
	v_fma_f32 v12, -v9, v10, 1.0
	v_fmac_f32_e32 v10, v12, v10
	v_mul_f32_e32 v12, v11, v10
	v_fma_f32 v13, -v9, v12, v11
	v_fmac_f32_e32 v12, v13, v10
	v_fma_f32 v9, -v9, v12, v11
	v_div_fmas_f32 v9, v9, v10, v12
	v_div_fixup_f32 v9, v9, v7, v8
	v_cmp_gt_i32_e32 vcc, v2, v6
	s_nop 1
	v_cndmask_b32_e32 v8, v8, v9, vcc
	v_cmp_class_f32_e64 s[30:31], v8, s42
	s_and_saveexec_b64 s[4:5], s[30:31]
	s_cbranch_execz .LBB2_3
; %bb.27:                               ;   in Loop: Header=BB2_4 Depth=1
	v_lshl_add_u64 v[10:11], v[4:5], 2, s[18:19]
	global_store_dword v[10:11], v8, off
	s_branch .LBB2_3
.LBB2_28:
	s_or_b64 exec, exec, s[28:29]
.LBB2_29:
	s_or_b64 exec, exec, s[26:27]
.LBB2_30:
	s_or_b64 exec, exec, s[24:25]
	s_movk_i32 s2, 0x200
	v_lshlrev_b32_e32 v2, 2, v0
	v_cmp_gt_u32_e32 vcc, s2, v0
	ds_write_b32 v2, v1
	s_waitcnt lgkmcnt(0)
	s_barrier
	s_and_saveexec_b64 s[2:3], vcc
	s_cbranch_execz .LBB2_32
; %bb.31:
	ds_read2st64_b32 v[4:5], v2 offset1:8
	s_waitcnt lgkmcnt(0)
	v_cmp_lt_f32_e32 vcc, v4, v5
	s_nop 1
	v_cndmask_b32_e32 v1, v4, v5, vcc
	ds_write_b32 v2, v1
.LBB2_32:
	s_or_b64 exec, exec, s[2:3]
	s_movk_i32 s2, 0x100
	v_cmp_gt_u32_e32 vcc, s2, v0
	s_waitcnt lgkmcnt(0)
	s_barrier
	s_and_saveexec_b64 s[2:3], vcc
	s_cbranch_execz .LBB2_34
; %bb.33:
	ds_read2st64_b32 v[4:5], v2 offset1:4
	s_waitcnt lgkmcnt(0)
	v_cmp_lt_f32_e32 vcc, v4, v5
	s_nop 1
	v_cndmask_b32_e32 v1, v4, v5, vcc
	ds_write_b32 v2, v1
.LBB2_34:
	s_or_b64 exec, exec, s[2:3]
	s_movk_i32 s2, 0x80
	v_cmp_gt_u32_e32 vcc, s2, v0
	s_waitcnt lgkmcnt(0)
	s_barrier
	s_and_saveexec_b64 s[2:3], vcc
	s_cbranch_execz .LBB2_36
; %bb.35:
	ds_read2st64_b32 v[4:5], v2 offset1:2
	s_waitcnt lgkmcnt(0)
	v_cmp_lt_f32_e32 vcc, v4, v5
	s_nop 1
	v_cndmask_b32_e32 v1, v4, v5, vcc
	ds_write_b32 v2, v1
.LBB2_36:
	s_or_b64 exec, exec, s[2:3]
	v_cmp_gt_u32_e32 vcc, 64, v0
	s_waitcnt lgkmcnt(0)
	s_barrier
	s_and_saveexec_b64 s[2:3], vcc
	s_cbranch_execz .LBB2_38
; %bb.37:
	ds_read2st64_b32 v[4:5], v2 offset1:1
	s_waitcnt lgkmcnt(0)
	v_cmp_lt_f32_e32 vcc, v4, v5
	s_nop 1
	v_cndmask_b32_e32 v1, v4, v5, vcc
	ds_write_b32 v2, v1
.LBB2_38:
	s_or_b64 exec, exec, s[2:3]
	v_cmp_gt_u32_e32 vcc, 32, v0
	s_waitcnt lgkmcnt(0)
	s_barrier
	s_and_saveexec_b64 s[2:3], vcc
	s_cbranch_execz .LBB2_40
; %bb.39:
	ds_read2_b32 v[4:5], v2 offset1:32
	s_waitcnt lgkmcnt(0)
	v_cmp_lt_f32_e32 vcc, v4, v5
	s_nop 1
	v_cndmask_b32_e32 v1, v4, v5, vcc
	ds_write_b32 v2, v1
.LBB2_40:
	s_or_b64 exec, exec, s[2:3]
	v_cmp_gt_u32_e32 vcc, 16, v0
	s_waitcnt lgkmcnt(0)
	s_barrier
	s_and_saveexec_b64 s[2:3], vcc
	s_cbranch_execz .LBB2_42
; %bb.41:
	ds_read2_b32 v[4:5], v2 offset1:16
	s_waitcnt lgkmcnt(0)
	v_cmp_lt_f32_e32 vcc, v4, v5
	s_nop 1
	v_cndmask_b32_e32 v1, v4, v5, vcc
	ds_write_b32 v2, v1
.LBB2_42:
	;; [unrolled: 14-line block ×5, first 2 shown]
	s_or_b64 exec, exec, s[2:3]
	v_cmp_eq_u32_e32 vcc, 0, v0
	s_waitcnt lgkmcnt(0)
	s_barrier
	s_and_saveexec_b64 s[4:5], vcc
	s_cbranch_execz .LBB2_50
; %bb.49:
	v_mov_b32_e32 v2, 0
	ds_read_b64 v[0:1], v2
	s_waitcnt lgkmcnt(0)
	v_cmp_lt_f32_e64 s[2:3], v0, v1
	s_nop 1
	v_cndmask_b32_e64 v0, v0, v1, s[2:3]
	ds_write_b32 v2, v0
.LBB2_50:
	s_or_b64 exec, exec, s[4:5]
	s_waitcnt lgkmcnt(0)
	s_barrier
	s_and_saveexec_b64 s[2:3], vcc
	s_cbranch_execz .LBB2_54
; %bb.51:
	v_mbcnt_lo_u32_b32 v0, exec_lo, 0
	v_mbcnt_hi_u32_b32 v0, exec_hi, v0
	v_cmp_eq_u32_e32 vcc, 0, v0
	s_and_b64 exec, exec, vcc
	s_cbranch_execz .LBB2_54
; %bb.52:
	s_load_dwordx4 s[0:3], s[0:1], 0x70
	v_mov_b32_e32 v2, 0
	ds_read_b32 v0, v2
	s_waitcnt lgkmcnt(0)
	s_load_dword s6, s[2:3], 0x0
	s_mov_b64 s[2:3], 0
	s_waitcnt lgkmcnt(0)
	v_div_scale_f32 v1, s[4:5], s6, s6, v0
	v_rcp_f32_e32 v3, v1
	v_div_scale_f32 v4, vcc, v0, s6, v0
	s_load_dword s4, s[0:1], 0x0
	v_fma_f32 v5, -v1, v3, 1.0
	v_fmac_f32_e32 v3, v5, v3
	v_mul_f32_e32 v5, v4, v3
	v_fma_f32 v6, -v1, v5, v4
	v_fmac_f32_e32 v5, v6, v3
	v_fma_f32 v1, -v1, v5, v4
	v_div_fmas_f32 v1, v1, v3, v5
	v_div_fixup_f32 v0, v1, s6, v0
	s_waitcnt lgkmcnt(0)
	v_mov_b32_e32 v1, s4
	v_max_f32_e32 v3, v0, v0
.LBB2_53:                               ; =>This Inner Loop Header: Depth=1
	v_max_f32_e32 v0, v1, v1
	v_max_f32_e32 v0, v0, v3
	global_atomic_cmpswap v0, v2, v[0:1], s[0:1] sc0
	s_waitcnt vmcnt(0)
	v_cmp_eq_u32_e32 vcc, v0, v1
	s_or_b64 s[2:3], vcc, s[2:3]
	v_mov_b32_e32 v1, v0
	s_andn2_b64 exec, exec, s[2:3]
	s_cbranch_execnz .LBB2_53
.LBB2_54:
	s_endpgm
	.section	.rodata,"a",@progbits
	.p2align	6, 0x0
	.amdhsa_kernel _ZN9rocsparseL16kernel_calculateILi1024ELi1ELb1EfiiEEvT4_T3_PKS2_S4_PKS1_PKT2_21rocsparse_index_base_S4_S4_S6_S4_S4_S6_S4_PS7_PNS_15floating_traitsIS7_E6data_tEPKSE_
		.amdhsa_group_segment_fixed_size 4096
		.amdhsa_private_segment_fixed_size 0
		.amdhsa_kernarg_size 128
		.amdhsa_user_sgpr_count 2
		.amdhsa_user_sgpr_dispatch_ptr 0
		.amdhsa_user_sgpr_queue_ptr 0
		.amdhsa_user_sgpr_kernarg_segment_ptr 1
		.amdhsa_user_sgpr_dispatch_id 0
		.amdhsa_user_sgpr_kernarg_preload_length 0
		.amdhsa_user_sgpr_kernarg_preload_offset 0
		.amdhsa_user_sgpr_private_segment_size 0
		.amdhsa_uses_dynamic_stack 0
		.amdhsa_enable_private_segment 0
		.amdhsa_system_sgpr_workgroup_id_x 1
		.amdhsa_system_sgpr_workgroup_id_y 0
		.amdhsa_system_sgpr_workgroup_id_z 0
		.amdhsa_system_sgpr_workgroup_info 0
		.amdhsa_system_vgpr_workitem_id 0
		.amdhsa_next_free_vgpr 26
		.amdhsa_next_free_sgpr 46
		.amdhsa_accum_offset 28
		.amdhsa_reserve_vcc 1
		.amdhsa_float_round_mode_32 0
		.amdhsa_float_round_mode_16_64 0
		.amdhsa_float_denorm_mode_32 3
		.amdhsa_float_denorm_mode_16_64 3
		.amdhsa_dx10_clamp 1
		.amdhsa_ieee_mode 1
		.amdhsa_fp16_overflow 0
		.amdhsa_tg_split 0
		.amdhsa_exception_fp_ieee_invalid_op 0
		.amdhsa_exception_fp_denorm_src 0
		.amdhsa_exception_fp_ieee_div_zero 0
		.amdhsa_exception_fp_ieee_overflow 0
		.amdhsa_exception_fp_ieee_underflow 0
		.amdhsa_exception_fp_ieee_inexact 0
		.amdhsa_exception_int_div_zero 0
	.end_amdhsa_kernel
	.section	.text._ZN9rocsparseL16kernel_calculateILi1024ELi1ELb1EfiiEEvT4_T3_PKS2_S4_PKS1_PKT2_21rocsparse_index_base_S4_S4_S6_S4_S4_S6_S4_PS7_PNS_15floating_traitsIS7_E6data_tEPKSE_,"axG",@progbits,_ZN9rocsparseL16kernel_calculateILi1024ELi1ELb1EfiiEEvT4_T3_PKS2_S4_PKS1_PKT2_21rocsparse_index_base_S4_S4_S6_S4_S4_S6_S4_PS7_PNS_15floating_traitsIS7_E6data_tEPKSE_,comdat
.Lfunc_end2:
	.size	_ZN9rocsparseL16kernel_calculateILi1024ELi1ELb1EfiiEEvT4_T3_PKS2_S4_PKS1_PKT2_21rocsparse_index_base_S4_S4_S6_S4_S4_S6_S4_PS7_PNS_15floating_traitsIS7_E6data_tEPKSE_, .Lfunc_end2-_ZN9rocsparseL16kernel_calculateILi1024ELi1ELb1EfiiEEvT4_T3_PKS2_S4_PKS1_PKT2_21rocsparse_index_base_S4_S4_S6_S4_S4_S6_S4_PS7_PNS_15floating_traitsIS7_E6data_tEPKSE_
                                        ; -- End function
	.set _ZN9rocsparseL16kernel_calculateILi1024ELi1ELb1EfiiEEvT4_T3_PKS2_S4_PKS1_PKT2_21rocsparse_index_base_S4_S4_S6_S4_S4_S6_S4_PS7_PNS_15floating_traitsIS7_E6data_tEPKSE_.num_vgpr, 26
	.set _ZN9rocsparseL16kernel_calculateILi1024ELi1ELb1EfiiEEvT4_T3_PKS2_S4_PKS1_PKT2_21rocsparse_index_base_S4_S4_S6_S4_S4_S6_S4_PS7_PNS_15floating_traitsIS7_E6data_tEPKSE_.num_agpr, 0
	.set _ZN9rocsparseL16kernel_calculateILi1024ELi1ELb1EfiiEEvT4_T3_PKS2_S4_PKS1_PKT2_21rocsparse_index_base_S4_S4_S6_S4_S4_S6_S4_PS7_PNS_15floating_traitsIS7_E6data_tEPKSE_.numbered_sgpr, 46
	.set _ZN9rocsparseL16kernel_calculateILi1024ELi1ELb1EfiiEEvT4_T3_PKS2_S4_PKS1_PKT2_21rocsparse_index_base_S4_S4_S6_S4_S4_S6_S4_PS7_PNS_15floating_traitsIS7_E6data_tEPKSE_.num_named_barrier, 0
	.set _ZN9rocsparseL16kernel_calculateILi1024ELi1ELb1EfiiEEvT4_T3_PKS2_S4_PKS1_PKT2_21rocsparse_index_base_S4_S4_S6_S4_S4_S6_S4_PS7_PNS_15floating_traitsIS7_E6data_tEPKSE_.private_seg_size, 0
	.set _ZN9rocsparseL16kernel_calculateILi1024ELi1ELb1EfiiEEvT4_T3_PKS2_S4_PKS1_PKT2_21rocsparse_index_base_S4_S4_S6_S4_S4_S6_S4_PS7_PNS_15floating_traitsIS7_E6data_tEPKSE_.uses_vcc, 1
	.set _ZN9rocsparseL16kernel_calculateILi1024ELi1ELb1EfiiEEvT4_T3_PKS2_S4_PKS1_PKT2_21rocsparse_index_base_S4_S4_S6_S4_S4_S6_S4_PS7_PNS_15floating_traitsIS7_E6data_tEPKSE_.uses_flat_scratch, 0
	.set _ZN9rocsparseL16kernel_calculateILi1024ELi1ELb1EfiiEEvT4_T3_PKS2_S4_PKS1_PKT2_21rocsparse_index_base_S4_S4_S6_S4_S4_S6_S4_PS7_PNS_15floating_traitsIS7_E6data_tEPKSE_.has_dyn_sized_stack, 0
	.set _ZN9rocsparseL16kernel_calculateILi1024ELi1ELb1EfiiEEvT4_T3_PKS2_S4_PKS1_PKT2_21rocsparse_index_base_S4_S4_S6_S4_S4_S6_S4_PS7_PNS_15floating_traitsIS7_E6data_tEPKSE_.has_recursion, 0
	.set _ZN9rocsparseL16kernel_calculateILi1024ELi1ELb1EfiiEEvT4_T3_PKS2_S4_PKS1_PKT2_21rocsparse_index_base_S4_S4_S6_S4_S4_S6_S4_PS7_PNS_15floating_traitsIS7_E6data_tEPKSE_.has_indirect_call, 0
	.section	.AMDGPU.csdata,"",@progbits
; Kernel info:
; codeLenInByte = 2068
; TotalNumSgprs: 52
; NumVgprs: 26
; NumAgprs: 0
; TotalNumVgprs: 26
; ScratchSize: 0
; MemoryBound: 0
; FloatMode: 240
; IeeeMode: 1
; LDSByteSize: 4096 bytes/workgroup (compile time only)
; SGPRBlocks: 6
; VGPRBlocks: 3
; NumSGPRsForWavesPerEU: 52
; NumVGPRsForWavesPerEU: 26
; AccumOffset: 28
; Occupancy: 8
; WaveLimiterHint : 1
; COMPUTE_PGM_RSRC2:SCRATCH_EN: 0
; COMPUTE_PGM_RSRC2:USER_SGPR: 2
; COMPUTE_PGM_RSRC2:TRAP_HANDLER: 0
; COMPUTE_PGM_RSRC2:TGID_X_EN: 1
; COMPUTE_PGM_RSRC2:TGID_Y_EN: 0
; COMPUTE_PGM_RSRC2:TGID_Z_EN: 0
; COMPUTE_PGM_RSRC2:TIDIG_COMP_CNT: 0
; COMPUTE_PGM_RSRC3_GFX90A:ACCUM_OFFSET: 6
; COMPUTE_PGM_RSRC3_GFX90A:TG_SPLIT: 0
	.section	.text._ZN9rocsparseL16kernel_calculateILi1024ELi2ELb1EfiiEEvT4_T3_PKS2_S4_PKS1_PKT2_21rocsparse_index_base_S4_S4_S6_S4_S4_S6_S4_PS7_PNS_15floating_traitsIS7_E6data_tEPKSE_,"axG",@progbits,_ZN9rocsparseL16kernel_calculateILi1024ELi2ELb1EfiiEEvT4_T3_PKS2_S4_PKS1_PKT2_21rocsparse_index_base_S4_S4_S6_S4_S4_S6_S4_PS7_PNS_15floating_traitsIS7_E6data_tEPKSE_,comdat
	.globl	_ZN9rocsparseL16kernel_calculateILi1024ELi2ELb1EfiiEEvT4_T3_PKS2_S4_PKS1_PKT2_21rocsparse_index_base_S4_S4_S6_S4_S4_S6_S4_PS7_PNS_15floating_traitsIS7_E6data_tEPKSE_ ; -- Begin function _ZN9rocsparseL16kernel_calculateILi1024ELi2ELb1EfiiEEvT4_T3_PKS2_S4_PKS1_PKT2_21rocsparse_index_base_S4_S4_S6_S4_S4_S6_S4_PS7_PNS_15floating_traitsIS7_E6data_tEPKSE_
	.p2align	8
	.type	_ZN9rocsparseL16kernel_calculateILi1024ELi2ELb1EfiiEEvT4_T3_PKS2_S4_PKS1_PKT2_21rocsparse_index_base_S4_S4_S6_S4_S4_S6_S4_PS7_PNS_15floating_traitsIS7_E6data_tEPKSE_,@function
_ZN9rocsparseL16kernel_calculateILi1024ELi2ELb1EfiiEEvT4_T3_PKS2_S4_PKS1_PKT2_21rocsparse_index_base_S4_S4_S6_S4_S4_S6_S4_PS7_PNS_15floating_traitsIS7_E6data_tEPKSE_: ; @_ZN9rocsparseL16kernel_calculateILi1024ELi2ELb1EfiiEEvT4_T3_PKS2_S4_PKS1_PKT2_21rocsparse_index_base_S4_S4_S6_S4_S4_S6_S4_PS7_PNS_15floating_traitsIS7_E6data_tEPKSE_
; %bb.0:
	s_load_dword s44, s[0:1], 0x0
	v_lshrrev_b32_e32 v1, 1, v0
	v_lshl_or_b32 v4, s2, 10, v1
	v_and_b32_e32 v22, 1, v0
	v_mov_b32_e32 v23, 0
	s_waitcnt lgkmcnt(0)
	v_cmp_gt_i32_e32 vcc, s44, v4
	s_and_saveexec_b64 s[28:29], vcc
	s_cbranch_execz .LBB3_60
; %bb.1:
	s_load_dwordx8 s[4:11], s[0:1], 0x8
	v_ashrrev_i32_e32 v5, 31, v4
	v_lshlrev_b64 v[2:3], 2, v[4:5]
	v_mov_b32_e32 v23, 0
	s_waitcnt lgkmcnt(0)
	v_lshl_add_u64 v[6:7], s[6:7], 0, v[2:3]
	v_lshl_add_u64 v[8:9], s[4:5], 0, v[2:3]
	global_load_dword v10, v[6:7], off
	global_load_dword v11, v[8:9], off
	s_load_dword s33, s[0:1], 0x28
	s_load_dwordx8 s[12:19], s[0:1], 0x50
	s_load_dwordx8 s[20:27], s[0:1], 0x30
	s_waitcnt lgkmcnt(0)
	v_subrev_u32_e32 v5, s33, v22
	s_waitcnt vmcnt(1)
	v_subrev_u32_e32 v24, s33, v10
	s_waitcnt vmcnt(0)
	v_add_u32_e32 v10, v5, v11
	v_cmp_lt_i32_e32 vcc, v10, v24
	s_and_saveexec_b64 s[6:7], vcc
	s_cbranch_execz .LBB3_29
; %bb.2:
	v_lshl_add_u64 v[12:13], s[22:23], 0, v[2:3]
	global_load_dword v11, v[12:13], off
	v_lshl_add_u64 v[12:13], s[20:21], 0, v[2:3]
	global_load_dword v12, v[12:13], off
	v_mov_b32_e32 v23, 0
	s_mov_b64 s[30:31], 0
	s_movk_i32 s45, 0x1f8
	s_mov_b32 s46, 0x7f800000
	s_waitcnt vmcnt(1)
	v_subrev_u32_e32 v25, s33, v11
	s_waitcnt vmcnt(0)
	v_subrev_u32_e32 v26, s33, v12
	v_cmp_lt_i32_e64 s[2:3], v12, v11
	s_branch .LBB3_4
.LBB3_3:                                ;   in Loop: Header=BB3_4 Depth=1
	s_or_b64 exec, exec, s[4:5]
	v_add_f32_e32 v11, v13, v30
	v_cmp_eq_u32_e32 vcc, v4, v12
	v_add_u32_e32 v10, 2, v10
	s_nop 0
	v_cndmask_b32_e32 v11, v30, v11, vcc
	v_cmp_nlg_f32_e64 s[4:5], |v11|, s46
	v_cmp_gt_f32_e64 s[34:35], v23, |v11|
	s_or_b64 s[4:5], s[4:5], s[34:35]
	v_cmp_ge_i32_e32 vcc, v10, v24
	s_or_b64 s[30:31], vcc, s[30:31]
	v_cndmask_b32_e64 v23, |v11|, v23, s[4:5]
	s_andn2_b64 exec, exec, s[30:31]
	s_cbranch_execz .LBB3_28
.LBB3_4:                                ; =>This Loop Header: Depth=1
                                        ;     Child Loop BB3_7 Depth 2
                                        ;     Child Loop BB3_13 Depth 2
	;; [unrolled: 1-line block ×3, first 2 shown]
	v_ashrrev_i32_e32 v11, 31, v10
	v_lshlrev_b64 v[14:15], 2, v[10:11]
	v_lshl_add_u64 v[12:13], s[8:9], 0, v[14:15]
	global_load_dword v28, v[12:13], off
	v_lshl_add_u64 v[14:15], s[10:11], 0, v[14:15]
	v_mov_b32_e32 v29, 0
	s_waitcnt vmcnt(0)
	v_subrev_u32_e32 v12, s33, v28
	v_ashrrev_i32_e32 v13, 31, v12
	v_lshlrev_b64 v[16:17], 2, v[12:13]
	v_lshl_add_u64 v[18:19], s[22:23], 0, v[16:17]
	global_load_dword v13, v[18:19], off
	v_lshl_add_u64 v[18:19], s[12:13], 0, v[16:17]
	v_lshl_add_u64 v[16:17], s[26:27], 0, v[16:17]
	global_load_dword v18, v[18:19], off
	s_nop 0
	global_load_dword v19, v[16:17], off
	global_load_dword v27, v[14:15], off
	s_waitcnt vmcnt(3)
	v_subrev_u32_e32 v14, s33, v13
	v_ashrrev_i32_e32 v15, 31, v14
	v_lshl_add_u64 v[14:15], v[14:15], 2, s[18:19]
	global_load_dword v13, v[14:15], off
	s_waitcnt vmcnt(2)
	v_cmp_lt_i32_e32 vcc, v19, v18
	v_subrev_u32_e32 v31, s33, v18
	v_subrev_u32_e32 v16, s33, v19
	s_and_b64 s[4:5], s[2:3], vcc
	v_mov_b32_e32 v14, v26
	s_and_saveexec_b64 s[34:35], s[4:5]
	s_cbranch_execz .LBB3_10
; %bb.5:                                ;   in Loop: Header=BB3_4 Depth=1
	v_mov_b32_e32 v29, 0
	s_mov_b64 s[36:37], 0
	v_mov_b32_e32 v14, v26
	s_branch .LBB3_7
.LBB3_6:                                ;   in Loop: Header=BB3_7 Depth=2
	s_or_b64 exec, exec, s[4:5]
	v_cmp_le_i32_e32 vcc, v18, v19
	s_nop 1
	v_addc_co_u32_e32 v14, vcc, 0, v14, vcc
	v_cmp_ge_i32_e32 vcc, v18, v19
	s_nop 1
	v_addc_co_u32_e32 v16, vcc, 0, v16, vcc
	v_cmp_ge_i32_e32 vcc, v14, v25
	v_cmp_ge_i32_e64 s[4:5], v16, v31
	s_or_b64 s[4:5], vcc, s[4:5]
	s_and_b64 s[4:5], exec, s[4:5]
	s_or_b64 s[36:37], s[4:5], s[36:37]
	s_andn2_b64 exec, exec, s[36:37]
	s_cbranch_execz .LBB3_9
.LBB3_7:                                ;   Parent Loop BB3_4 Depth=1
                                        ; =>  This Inner Loop Header: Depth=2
	v_ashrrev_i32_e32 v15, 31, v14
	v_ashrrev_i32_e32 v17, 31, v16
	v_lshl_add_u64 v[18:19], v[14:15], 2, s[24:25]
	v_lshl_add_u64 v[20:21], v[16:17], 2, s[14:15]
	global_load_dword v18, v[18:19], off
	s_nop 0
	global_load_dword v19, v[20:21], off
	s_waitcnt vmcnt(0)
	v_cmp_eq_u32_e32 vcc, v18, v19
	s_and_saveexec_b64 s[4:5], vcc
	s_cbranch_execz .LBB3_6
; %bb.8:                                ;   in Loop: Header=BB3_7 Depth=2
	v_lshl_add_u64 v[20:21], v[16:17], 2, s[16:17]
	global_load_dword v20, v[20:21], off
	v_lshl_add_u64 v[32:33], v[14:15], 2, s[18:19]
	global_load_dword v15, v[32:33], off
	s_waitcnt vmcnt(1)
	v_ashrrev_i32_e32 v21, 31, v20
	v_lshl_add_u64 v[20:21], v[20:21], 2, s[18:19]
	global_load_dword v17, v[20:21], off
	s_waitcnt vmcnt(0)
	v_fmac_f32_e32 v29, v15, v17
	s_branch .LBB3_6
.LBB3_9:                                ;   in Loop: Header=BB3_4 Depth=1
	s_or_b64 exec, exec, s[36:37]
.LBB3_10:                               ;   in Loop: Header=BB3_4 Depth=1
	s_or_b64 exec, exec, s[34:35]
	s_waitcnt vmcnt(1)
	v_sub_f32_e32 v30, v29, v27
	v_cmp_lt_i32_e32 vcc, v16, v31
	s_and_saveexec_b64 s[4:5], vcc
	s_cbranch_execz .LBB3_18
; %bb.11:                               ;   in Loop: Header=BB3_4 Depth=1
	v_ashrrev_i32_e32 v17, 31, v16
	v_lshl_add_u64 v[18:19], v[16:17], 2, s[14:15]
	s_mov_b64 s[34:35], 0
                                        ; implicit-def: $sgpr36_sgpr37
                                        ; implicit-def: $sgpr40_sgpr41
                                        ; implicit-def: $sgpr38_sgpr39
	s_branch .LBB3_13
.LBB3_12:                               ;   in Loop: Header=BB3_13 Depth=2
	s_or_b64 exec, exec, s[42:43]
	s_and_b64 s[42:43], exec, s[40:41]
	s_or_b64 s[34:35], s[42:43], s[34:35]
	s_andn2_b64 s[36:37], s[36:37], exec
	s_and_b64 s[42:43], s[38:39], exec
	s_or_b64 s[36:37], s[36:37], s[42:43]
	s_andn2_b64 exec, exec, s[34:35]
	s_cbranch_execz .LBB3_15
.LBB3_13:                               ;   Parent Loop BB3_4 Depth=1
                                        ; =>  This Inner Loop Header: Depth=2
	global_load_dword v15, v[18:19], off
	v_mov_b64_e32 v[20:21], v[16:17]
	s_or_b64 s[38:39], s[38:39], exec
	s_or_b64 s[40:41], s[40:41], exec
                                        ; implicit-def: $vgpr16_vgpr17
	s_waitcnt vmcnt(0)
	v_subrev_u32_e32 v15, s33, v15
	v_cmp_ne_u32_e32 vcc, v15, v4
	s_and_saveexec_b64 s[42:43], vcc
	s_cbranch_execz .LBB3_12
; %bb.14:                               ;   in Loop: Header=BB3_13 Depth=2
	v_lshl_add_u64 v[16:17], v[20:21], 0, 1
	v_cmp_ge_i32_e32 vcc, v16, v31
	s_andn2_b64 s[40:41], s[40:41], exec
	s_and_b64 s[48:49], vcc, exec
	v_lshl_add_u64 v[18:19], v[18:19], 0, 4
	s_andn2_b64 s[38:39], s[38:39], exec
	s_or_b64 s[40:41], s[40:41], s[48:49]
	s_branch .LBB3_12
.LBB3_15:                               ;   in Loop: Header=BB3_4 Depth=1
	s_or_b64 exec, exec, s[34:35]
	s_and_saveexec_b64 s[34:35], s[36:37]
	s_xor_b64 s[34:35], exec, s[34:35]
	s_cbranch_execz .LBB3_17
; %bb.16:                               ;   in Loop: Header=BB3_4 Depth=1
	v_lshl_add_u64 v[16:17], v[20:21], 2, s[16:17]
	global_load_dword v16, v[16:17], off
	s_waitcnt vmcnt(0)
	v_ashrrev_i32_e32 v17, 31, v16
	v_lshl_add_u64 v[16:17], v[16:17], 2, s[18:19]
	global_load_dword v15, v[16:17], off
	s_waitcnt vmcnt(0)
	v_add_f32_e32 v30, v30, v15
.LBB3_17:                               ;   in Loop: Header=BB3_4 Depth=1
	s_or_b64 exec, exec, s[34:35]
.LBB3_18:                               ;   in Loop: Header=BB3_4 Depth=1
	s_or_b64 exec, exec, s[4:5]
	v_cmp_lt_i32_e32 vcc, v14, v25
	s_and_saveexec_b64 s[4:5], vcc
	s_cbranch_execz .LBB3_26
; %bb.19:                               ;   in Loop: Header=BB3_4 Depth=1
	v_ashrrev_i32_e32 v15, 31, v14
	v_lshl_add_u64 v[16:17], v[14:15], 2, s[24:25]
	s_mov_b64 s[34:35], 0
                                        ; implicit-def: $sgpr36_sgpr37
                                        ; implicit-def: $sgpr40_sgpr41
                                        ; implicit-def: $sgpr38_sgpr39
	s_branch .LBB3_21
.LBB3_20:                               ;   in Loop: Header=BB3_21 Depth=2
	s_or_b64 exec, exec, s[42:43]
	s_and_b64 s[42:43], exec, s[40:41]
	s_or_b64 s[34:35], s[42:43], s[34:35]
	s_andn2_b64 s[36:37], s[36:37], exec
	s_and_b64 s[42:43], s[38:39], exec
	s_or_b64 s[36:37], s[36:37], s[42:43]
	s_andn2_b64 exec, exec, s[34:35]
	s_cbranch_execz .LBB3_23
.LBB3_21:                               ;   Parent Loop BB3_4 Depth=1
                                        ; =>  This Inner Loop Header: Depth=2
	global_load_dword v20, v[16:17], off
	v_mov_b64_e32 v[18:19], v[14:15]
	s_or_b64 s[38:39], s[38:39], exec
	s_or_b64 s[40:41], s[40:41], exec
                                        ; implicit-def: $vgpr14_vgpr15
	s_waitcnt vmcnt(0)
	v_cmp_ne_u32_e32 vcc, v20, v28
	s_and_saveexec_b64 s[42:43], vcc
	s_cbranch_execz .LBB3_20
; %bb.22:                               ;   in Loop: Header=BB3_21 Depth=2
	v_lshl_add_u64 v[14:15], v[18:19], 0, 1
	v_cmp_ge_i32_e32 vcc, v14, v25
	s_andn2_b64 s[40:41], s[40:41], exec
	s_and_b64 s[48:49], vcc, exec
	v_lshl_add_u64 v[16:17], v[16:17], 0, 4
	s_andn2_b64 s[38:39], s[38:39], exec
	s_or_b64 s[40:41], s[40:41], s[48:49]
	s_branch .LBB3_20
.LBB3_23:                               ;   in Loop: Header=BB3_4 Depth=1
	s_or_b64 exec, exec, s[34:35]
	s_and_saveexec_b64 s[34:35], s[36:37]
	s_xor_b64 s[34:35], exec, s[34:35]
	s_cbranch_execz .LBB3_25
; %bb.24:                               ;   in Loop: Header=BB3_4 Depth=1
	v_lshl_add_u64 v[14:15], v[18:19], 2, s[18:19]
	global_load_dword v14, v[14:15], off
	s_waitcnt vmcnt(0)
	v_fmac_f32_e32 v30, v14, v13
.LBB3_25:                               ;   in Loop: Header=BB3_4 Depth=1
	s_or_b64 exec, exec, s[34:35]
.LBB3_26:                               ;   in Loop: Header=BB3_4 Depth=1
	s_or_b64 exec, exec, s[4:5]
	v_sub_f32_e32 v14, v27, v29
	s_waitcnt vmcnt(0)
	v_div_scale_f32 v15, s[4:5], v13, v13, v14
	v_rcp_f32_e32 v16, v15
	v_div_scale_f32 v17, vcc, v14, v13, v14
	v_fma_f32 v18, -v15, v16, 1.0
	v_fmac_f32_e32 v16, v18, v16
	v_mul_f32_e32 v18, v17, v16
	v_fma_f32 v19, -v15, v18, v17
	v_fmac_f32_e32 v18, v19, v16
	v_fma_f32 v15, -v15, v18, v17
	v_div_fmas_f32 v15, v15, v16, v18
	v_div_fixup_f32 v15, v15, v13, v14
	v_cmp_gt_i32_e32 vcc, v4, v12
	s_nop 1
	v_cndmask_b32_e32 v14, v14, v15, vcc
	v_cmp_class_f32_e64 s[34:35], v14, s45
	s_and_saveexec_b64 s[4:5], s[34:35]
	s_cbranch_execz .LBB3_3
; %bb.27:                               ;   in Loop: Header=BB3_4 Depth=1
	v_lshl_add_u64 v[16:17], v[10:11], 2, s[18:19]
	global_store_dword v[16:17], v14, off
	s_branch .LBB3_3
.LBB3_28:
	s_or_b64 exec, exec, s[30:31]
.LBB3_29:
	s_or_b64 exec, exec, s[6:7]
	v_or_b32_e32 v14, 0x200, v4
	v_cmp_gt_i32_e32 vcc, s44, v14
	s_and_saveexec_b64 s[6:7], vcc
	s_cbranch_execz .LBB3_59
; %bb.30:
	global_load_dword v4, v[6:7], off offset:2048
	global_load_dword v10, v[8:9], off offset:2048
	s_waitcnt vmcnt(1)
	v_subrev_u32_e32 v15, s33, v4
	s_waitcnt vmcnt(0)
	v_add_u32_e32 v4, v5, v10
	v_cmp_lt_i32_e32 vcc, v4, v15
	s_and_saveexec_b64 s[30:31], vcc
	s_cbranch_execz .LBB3_58
; %bb.31:
	v_lshl_add_u64 v[6:7], s[22:23], 0, v[2:3]
	v_lshl_add_u64 v[2:3], s[20:21], 0, v[2:3]
	global_load_dword v5, v[6:7], off offset:2048
	s_mov_b64 s[20:21], 0
	global_load_dword v2, v[2:3], off offset:2048
	s_movk_i32 s44, 0x1f8
	s_mov_b32 s45, 0x7f800000
	s_waitcnt vmcnt(1)
	v_subrev_u32_e32 v16, s33, v5
	s_waitcnt vmcnt(0)
	v_subrev_u32_e32 v17, s33, v2
	v_cmp_lt_i32_e64 s[2:3], v2, v5
	s_branch .LBB3_33
.LBB3_32:                               ;   in Loop: Header=BB3_33 Depth=1
	s_or_b64 exec, exec, s[4:5]
	v_add_f32_e32 v3, v3, v21
	v_cmp_eq_u32_e32 vcc, v14, v2
	v_add_u32_e32 v4, 2, v4
	s_nop 0
	v_cndmask_b32_e32 v2, v21, v3, vcc
	v_cmp_nlg_f32_e64 s[4:5], |v2|, s45
	v_cmp_gt_f32_e64 s[34:35], v23, |v2|
	s_or_b64 s[4:5], s[4:5], s[34:35]
	v_cmp_ge_i32_e32 vcc, v4, v15
	s_or_b64 s[20:21], vcc, s[20:21]
	v_cndmask_b32_e64 v23, |v2|, v23, s[4:5]
	s_andn2_b64 exec, exec, s[20:21]
	s_cbranch_execz .LBB3_57
.LBB3_33:                               ; =>This Loop Header: Depth=1
                                        ;     Child Loop BB3_36 Depth 2
                                        ;     Child Loop BB3_42 Depth 2
	;; [unrolled: 1-line block ×3, first 2 shown]
	v_ashrrev_i32_e32 v5, 31, v4
	v_lshlrev_b64 v[6:7], 2, v[4:5]
	v_lshl_add_u64 v[2:3], s[8:9], 0, v[6:7]
	global_load_dword v19, v[2:3], off
	v_lshl_add_u64 v[6:7], s[10:11], 0, v[6:7]
	v_mov_b32_e32 v20, 0
	s_waitcnt vmcnt(0)
	v_subrev_u32_e32 v2, s33, v19
	v_ashrrev_i32_e32 v3, 31, v2
	v_lshlrev_b64 v[8:9], 2, v[2:3]
	v_lshl_add_u64 v[10:11], s[22:23], 0, v[8:9]
	global_load_dword v3, v[10:11], off
	v_lshl_add_u64 v[10:11], s[12:13], 0, v[8:9]
	v_lshl_add_u64 v[8:9], s[26:27], 0, v[8:9]
	global_load_dword v10, v[10:11], off
	s_nop 0
	global_load_dword v11, v[8:9], off
	global_load_dword v18, v[6:7], off
	s_waitcnt vmcnt(3)
	v_subrev_u32_e32 v6, s33, v3
	v_ashrrev_i32_e32 v7, 31, v6
	v_lshl_add_u64 v[6:7], v[6:7], 2, s[18:19]
	global_load_dword v3, v[6:7], off
	s_waitcnt vmcnt(2)
	v_cmp_lt_i32_e32 vcc, v11, v10
	v_subrev_u32_e32 v24, s33, v10
	v_subrev_u32_e32 v8, s33, v11
	s_and_b64 s[4:5], s[2:3], vcc
	v_mov_b32_e32 v6, v17
	s_and_saveexec_b64 s[34:35], s[4:5]
	s_cbranch_execz .LBB3_39
; %bb.34:                               ;   in Loop: Header=BB3_33 Depth=1
	v_mov_b32_e32 v20, 0
	s_mov_b64 s[36:37], 0
	v_mov_b32_e32 v6, v17
	s_branch .LBB3_36
.LBB3_35:                               ;   in Loop: Header=BB3_36 Depth=2
	s_or_b64 exec, exec, s[4:5]
	v_cmp_le_i32_e32 vcc, v10, v11
	s_nop 1
	v_addc_co_u32_e32 v6, vcc, 0, v6, vcc
	v_cmp_ge_i32_e32 vcc, v10, v11
	s_nop 1
	v_addc_co_u32_e32 v8, vcc, 0, v8, vcc
	v_cmp_ge_i32_e32 vcc, v6, v16
	v_cmp_ge_i32_e64 s[4:5], v8, v24
	s_or_b64 s[4:5], vcc, s[4:5]
	s_and_b64 s[4:5], exec, s[4:5]
	s_or_b64 s[36:37], s[4:5], s[36:37]
	s_andn2_b64 exec, exec, s[36:37]
	s_cbranch_execz .LBB3_38
.LBB3_36:                               ;   Parent Loop BB3_33 Depth=1
                                        ; =>  This Inner Loop Header: Depth=2
	v_ashrrev_i32_e32 v7, 31, v6
	v_ashrrev_i32_e32 v9, 31, v8
	v_lshl_add_u64 v[10:11], v[6:7], 2, s[24:25]
	v_lshl_add_u64 v[12:13], v[8:9], 2, s[14:15]
	global_load_dword v10, v[10:11], off
	s_nop 0
	global_load_dword v11, v[12:13], off
	s_waitcnt vmcnt(0)
	v_cmp_eq_u32_e32 vcc, v10, v11
	s_and_saveexec_b64 s[4:5], vcc
	s_cbranch_execz .LBB3_35
; %bb.37:                               ;   in Loop: Header=BB3_36 Depth=2
	v_lshl_add_u64 v[12:13], v[8:9], 2, s[16:17]
	global_load_dword v12, v[12:13], off
	v_lshl_add_u64 v[26:27], v[6:7], 2, s[18:19]
	global_load_dword v7, v[26:27], off
	s_waitcnt vmcnt(1)
	v_ashrrev_i32_e32 v13, 31, v12
	v_lshl_add_u64 v[12:13], v[12:13], 2, s[18:19]
	global_load_dword v9, v[12:13], off
	s_waitcnt vmcnt(0)
	v_fmac_f32_e32 v20, v7, v9
	s_branch .LBB3_35
.LBB3_38:                               ;   in Loop: Header=BB3_33 Depth=1
	s_or_b64 exec, exec, s[36:37]
.LBB3_39:                               ;   in Loop: Header=BB3_33 Depth=1
	s_or_b64 exec, exec, s[34:35]
	s_waitcnt vmcnt(1)
	v_sub_f32_e32 v21, v20, v18
	v_cmp_lt_i32_e32 vcc, v8, v24
	s_and_saveexec_b64 s[4:5], vcc
	s_cbranch_execz .LBB3_47
; %bb.40:                               ;   in Loop: Header=BB3_33 Depth=1
	v_ashrrev_i32_e32 v9, 31, v8
	v_lshl_add_u64 v[10:11], v[8:9], 2, s[14:15]
	s_mov_b64 s[36:37], 0
                                        ; implicit-def: $sgpr34_sgpr35
                                        ; implicit-def: $sgpr40_sgpr41
                                        ; implicit-def: $sgpr38_sgpr39
	s_branch .LBB3_42
.LBB3_41:                               ;   in Loop: Header=BB3_42 Depth=2
	s_or_b64 exec, exec, s[42:43]
	s_and_b64 s[42:43], exec, s[40:41]
	s_or_b64 s[36:37], s[42:43], s[36:37]
	s_andn2_b64 s[34:35], s[34:35], exec
	s_and_b64 s[42:43], s[38:39], exec
	s_or_b64 s[34:35], s[34:35], s[42:43]
	s_andn2_b64 exec, exec, s[36:37]
	s_cbranch_execz .LBB3_44
.LBB3_42:                               ;   Parent Loop BB3_33 Depth=1
                                        ; =>  This Inner Loop Header: Depth=2
	global_load_dword v7, v[10:11], off
	v_mov_b64_e32 v[12:13], v[8:9]
	s_or_b64 s[38:39], s[38:39], exec
	s_or_b64 s[40:41], s[40:41], exec
                                        ; implicit-def: $vgpr8_vgpr9
	s_waitcnt vmcnt(0)
	v_subrev_u32_e32 v7, s33, v7
	v_cmp_ne_u32_e32 vcc, v7, v14
	s_and_saveexec_b64 s[42:43], vcc
	s_cbranch_execz .LBB3_41
; %bb.43:                               ;   in Loop: Header=BB3_42 Depth=2
	v_lshl_add_u64 v[8:9], v[12:13], 0, 1
	v_cmp_ge_i32_e32 vcc, v8, v24
	s_andn2_b64 s[40:41], s[40:41], exec
	s_and_b64 s[46:47], vcc, exec
	v_lshl_add_u64 v[10:11], v[10:11], 0, 4
	s_andn2_b64 s[38:39], s[38:39], exec
	s_or_b64 s[40:41], s[40:41], s[46:47]
	s_branch .LBB3_41
.LBB3_44:                               ;   in Loop: Header=BB3_33 Depth=1
	s_or_b64 exec, exec, s[36:37]
	s_and_saveexec_b64 s[36:37], s[34:35]
	s_xor_b64 s[34:35], exec, s[36:37]
	s_cbranch_execz .LBB3_46
; %bb.45:                               ;   in Loop: Header=BB3_33 Depth=1
	v_lshl_add_u64 v[8:9], v[12:13], 2, s[16:17]
	global_load_dword v8, v[8:9], off
	s_waitcnt vmcnt(0)
	v_ashrrev_i32_e32 v9, 31, v8
	v_lshl_add_u64 v[8:9], v[8:9], 2, s[18:19]
	global_load_dword v7, v[8:9], off
	s_waitcnt vmcnt(0)
	v_add_f32_e32 v21, v21, v7
.LBB3_46:                               ;   in Loop: Header=BB3_33 Depth=1
	s_or_b64 exec, exec, s[34:35]
.LBB3_47:                               ;   in Loop: Header=BB3_33 Depth=1
	s_or_b64 exec, exec, s[4:5]
	v_cmp_lt_i32_e32 vcc, v6, v16
	s_and_saveexec_b64 s[4:5], vcc
	s_cbranch_execz .LBB3_55
; %bb.48:                               ;   in Loop: Header=BB3_33 Depth=1
	v_ashrrev_i32_e32 v7, 31, v6
	v_lshl_add_u64 v[8:9], v[6:7], 2, s[24:25]
	s_mov_b64 s[36:37], 0
                                        ; implicit-def: $sgpr34_sgpr35
                                        ; implicit-def: $sgpr40_sgpr41
                                        ; implicit-def: $sgpr38_sgpr39
	s_branch .LBB3_50
.LBB3_49:                               ;   in Loop: Header=BB3_50 Depth=2
	s_or_b64 exec, exec, s[42:43]
	s_and_b64 s[42:43], exec, s[40:41]
	s_or_b64 s[36:37], s[42:43], s[36:37]
	s_andn2_b64 s[34:35], s[34:35], exec
	s_and_b64 s[42:43], s[38:39], exec
	s_or_b64 s[34:35], s[34:35], s[42:43]
	s_andn2_b64 exec, exec, s[36:37]
	s_cbranch_execz .LBB3_52
.LBB3_50:                               ;   Parent Loop BB3_33 Depth=1
                                        ; =>  This Inner Loop Header: Depth=2
	global_load_dword v12, v[8:9], off
	v_mov_b64_e32 v[10:11], v[6:7]
	s_or_b64 s[38:39], s[38:39], exec
	s_or_b64 s[40:41], s[40:41], exec
                                        ; implicit-def: $vgpr6_vgpr7
	s_waitcnt vmcnt(0)
	v_cmp_ne_u32_e32 vcc, v12, v19
	s_and_saveexec_b64 s[42:43], vcc
	s_cbranch_execz .LBB3_49
; %bb.51:                               ;   in Loop: Header=BB3_50 Depth=2
	v_lshl_add_u64 v[6:7], v[10:11], 0, 1
	v_cmp_ge_i32_e32 vcc, v6, v16
	s_andn2_b64 s[40:41], s[40:41], exec
	s_and_b64 s[46:47], vcc, exec
	v_lshl_add_u64 v[8:9], v[8:9], 0, 4
	s_andn2_b64 s[38:39], s[38:39], exec
	s_or_b64 s[40:41], s[40:41], s[46:47]
	s_branch .LBB3_49
.LBB3_52:                               ;   in Loop: Header=BB3_33 Depth=1
	s_or_b64 exec, exec, s[36:37]
	s_and_saveexec_b64 s[36:37], s[34:35]
	s_xor_b64 s[34:35], exec, s[36:37]
	s_cbranch_execz .LBB3_54
; %bb.53:                               ;   in Loop: Header=BB3_33 Depth=1
	v_lshl_add_u64 v[6:7], v[10:11], 2, s[18:19]
	global_load_dword v6, v[6:7], off
	s_waitcnt vmcnt(0)
	v_fmac_f32_e32 v21, v6, v3
.LBB3_54:                               ;   in Loop: Header=BB3_33 Depth=1
	s_or_b64 exec, exec, s[34:35]
.LBB3_55:                               ;   in Loop: Header=BB3_33 Depth=1
	s_or_b64 exec, exec, s[4:5]
	v_sub_f32_e32 v6, v18, v20
	s_waitcnt vmcnt(0)
	v_div_scale_f32 v7, s[4:5], v3, v3, v6
	v_rcp_f32_e32 v8, v7
	v_div_scale_f32 v9, vcc, v6, v3, v6
	v_fma_f32 v10, -v7, v8, 1.0
	v_fmac_f32_e32 v8, v10, v8
	v_mul_f32_e32 v10, v9, v8
	v_fma_f32 v11, -v7, v10, v9
	v_fmac_f32_e32 v10, v11, v8
	v_fma_f32 v7, -v7, v10, v9
	v_div_fmas_f32 v7, v7, v8, v10
	v_div_fixup_f32 v7, v7, v3, v6
	v_cmp_gt_i32_e32 vcc, v14, v2
	s_nop 1
	v_cndmask_b32_e32 v6, v6, v7, vcc
	v_cmp_class_f32_e64 s[34:35], v6, s44
	s_and_saveexec_b64 s[4:5], s[34:35]
	s_cbranch_execz .LBB3_32
; %bb.56:                               ;   in Loop: Header=BB3_33 Depth=1
	v_lshl_add_u64 v[8:9], v[4:5], 2, s[18:19]
	global_store_dword v[8:9], v6, off
	s_branch .LBB3_32
.LBB3_57:
	s_or_b64 exec, exec, s[20:21]
.LBB3_58:
	s_or_b64 exec, exec, s[30:31]
.LBB3_59:
	s_or_b64 exec, exec, s[6:7]
.LBB3_60:
	s_or_b64 exec, exec, s[28:29]
	v_mov_b32_dpp v2, v23 row_shr:1 row_mask:0xf bank_mask:0xf
	v_cmp_ne_u32_e32 vcc, 0, v22
	s_and_saveexec_b64 s[2:3], vcc
; %bb.61:
	v_cmp_lt_f32_e32 vcc, v23, v2
	v_lshlrev_b32_e32 v1, 2, v1
	s_nop 0
	v_cndmask_b32_e32 v2, v23, v2, vcc
	ds_write_b32 v1, v2
; %bb.62:
	s_or_b64 exec, exec, s[2:3]
	s_movk_i32 s2, 0x100
	v_cmp_gt_u32_e32 vcc, s2, v0
	v_lshlrev_b32_e32 v1, 2, v0
	s_waitcnt lgkmcnt(0)
	s_barrier
	s_and_saveexec_b64 s[2:3], vcc
	s_cbranch_execz .LBB3_64
; %bb.63:
	ds_read2st64_b32 v[2:3], v1 offset1:4
	s_waitcnt lgkmcnt(0)
	v_cmp_lt_f32_e32 vcc, v2, v3
	s_nop 1
	v_cndmask_b32_e32 v2, v2, v3, vcc
	ds_write_b32 v1, v2
.LBB3_64:
	s_or_b64 exec, exec, s[2:3]
	s_movk_i32 s2, 0x80
	v_cmp_gt_u32_e32 vcc, s2, v0
	s_waitcnt lgkmcnt(0)
	s_barrier
	s_and_saveexec_b64 s[2:3], vcc
	s_cbranch_execz .LBB3_66
; %bb.65:
	ds_read2st64_b32 v[2:3], v1 offset1:2
	s_waitcnt lgkmcnt(0)
	v_cmp_lt_f32_e32 vcc, v2, v3
	s_nop 1
	v_cndmask_b32_e32 v2, v2, v3, vcc
	ds_write_b32 v1, v2
.LBB3_66:
	s_or_b64 exec, exec, s[2:3]
	v_cmp_gt_u32_e32 vcc, 64, v0
	s_waitcnt lgkmcnt(0)
	s_barrier
	s_and_saveexec_b64 s[2:3], vcc
	s_cbranch_execz .LBB3_68
; %bb.67:
	ds_read2st64_b32 v[2:3], v1 offset1:1
	s_waitcnt lgkmcnt(0)
	v_cmp_lt_f32_e32 vcc, v2, v3
	s_nop 1
	v_cndmask_b32_e32 v2, v2, v3, vcc
	ds_write_b32 v1, v2
.LBB3_68:
	s_or_b64 exec, exec, s[2:3]
	v_cmp_gt_u32_e32 vcc, 32, v0
	s_waitcnt lgkmcnt(0)
	s_barrier
	s_and_saveexec_b64 s[2:3], vcc
	s_cbranch_execz .LBB3_70
; %bb.69:
	ds_read2_b32 v[2:3], v1 offset1:32
	s_waitcnt lgkmcnt(0)
	v_cmp_lt_f32_e32 vcc, v2, v3
	s_nop 1
	v_cndmask_b32_e32 v2, v2, v3, vcc
	ds_write_b32 v1, v2
.LBB3_70:
	s_or_b64 exec, exec, s[2:3]
	v_cmp_gt_u32_e32 vcc, 16, v0
	s_waitcnt lgkmcnt(0)
	s_barrier
	s_and_saveexec_b64 s[2:3], vcc
	s_cbranch_execz .LBB3_72
; %bb.71:
	ds_read2_b32 v[2:3], v1 offset1:16
	s_waitcnt lgkmcnt(0)
	v_cmp_lt_f32_e32 vcc, v2, v3
	s_nop 1
	v_cndmask_b32_e32 v2, v2, v3, vcc
	ds_write_b32 v1, v2
.LBB3_72:
	s_or_b64 exec, exec, s[2:3]
	v_cmp_gt_u32_e32 vcc, 8, v0
	s_waitcnt lgkmcnt(0)
	s_barrier
	s_and_saveexec_b64 s[2:3], vcc
	s_cbranch_execz .LBB3_74
; %bb.73:
	ds_read2_b32 v[2:3], v1 offset1:8
	s_waitcnt lgkmcnt(0)
	v_cmp_lt_f32_e32 vcc, v2, v3
	s_nop 1
	v_cndmask_b32_e32 v2, v2, v3, vcc
	ds_write_b32 v1, v2
.LBB3_74:
	s_or_b64 exec, exec, s[2:3]
	v_cmp_gt_u32_e32 vcc, 4, v0
	s_waitcnt lgkmcnt(0)
	s_barrier
	s_and_saveexec_b64 s[2:3], vcc
	s_cbranch_execz .LBB3_76
; %bb.75:
	ds_read2_b32 v[2:3], v1 offset1:4
	s_waitcnt lgkmcnt(0)
	v_cmp_lt_f32_e32 vcc, v2, v3
	s_nop 1
	v_cndmask_b32_e32 v2, v2, v3, vcc
	ds_write_b32 v1, v2
.LBB3_76:
	s_or_b64 exec, exec, s[2:3]
	v_cmp_gt_u32_e32 vcc, 2, v0
	s_waitcnt lgkmcnt(0)
	s_barrier
	s_and_saveexec_b64 s[2:3], vcc
	s_cbranch_execz .LBB3_78
; %bb.77:
	ds_read2_b32 v[2:3], v1 offset1:2
	s_waitcnt lgkmcnt(0)
	v_cmp_lt_f32_e32 vcc, v2, v3
	s_nop 1
	v_cndmask_b32_e32 v2, v2, v3, vcc
	ds_write_b32 v1, v2
.LBB3_78:
	s_or_b64 exec, exec, s[2:3]
	v_cmp_eq_u32_e32 vcc, 0, v0
	s_waitcnt lgkmcnt(0)
	s_barrier
	s_and_saveexec_b64 s[4:5], vcc
	s_cbranch_execz .LBB3_80
; %bb.79:
	v_mov_b32_e32 v2, 0
	ds_read_b64 v[0:1], v2
	s_waitcnt lgkmcnt(0)
	v_cmp_lt_f32_e64 s[2:3], v0, v1
	s_nop 1
	v_cndmask_b32_e64 v0, v0, v1, s[2:3]
	ds_write_b32 v2, v0
.LBB3_80:
	s_or_b64 exec, exec, s[4:5]
	s_waitcnt lgkmcnt(0)
	s_barrier
	s_and_saveexec_b64 s[2:3], vcc
	s_cbranch_execz .LBB3_84
; %bb.81:
	v_mbcnt_lo_u32_b32 v0, exec_lo, 0
	v_mbcnt_hi_u32_b32 v0, exec_hi, v0
	v_cmp_eq_u32_e32 vcc, 0, v0
	s_and_b64 exec, exec, vcc
	s_cbranch_execz .LBB3_84
; %bb.82:
	s_load_dwordx4 s[0:3], s[0:1], 0x70
	v_mov_b32_e32 v2, 0
	ds_read_b32 v0, v2
	s_waitcnt lgkmcnt(0)
	s_load_dword s6, s[2:3], 0x0
	s_mov_b64 s[2:3], 0
	s_waitcnt lgkmcnt(0)
	v_div_scale_f32 v1, s[4:5], s6, s6, v0
	v_rcp_f32_e32 v3, v1
	v_div_scale_f32 v4, vcc, v0, s6, v0
	s_load_dword s4, s[0:1], 0x0
	v_fma_f32 v5, -v1, v3, 1.0
	v_fmac_f32_e32 v3, v5, v3
	v_mul_f32_e32 v5, v4, v3
	v_fma_f32 v6, -v1, v5, v4
	v_fmac_f32_e32 v5, v6, v3
	v_fma_f32 v1, -v1, v5, v4
	v_div_fmas_f32 v1, v1, v3, v5
	v_div_fixup_f32 v0, v1, s6, v0
	s_waitcnt lgkmcnt(0)
	v_mov_b32_e32 v1, s4
	v_max_f32_e32 v3, v0, v0
.LBB3_83:                               ; =>This Inner Loop Header: Depth=1
	v_max_f32_e32 v0, v1, v1
	v_max_f32_e32 v0, v0, v3
	global_atomic_cmpswap v0, v2, v[0:1], s[0:1] sc0
	s_waitcnt vmcnt(0)
	v_cmp_eq_u32_e32 vcc, v0, v1
	s_or_b64 s[2:3], vcc, s[2:3]
	v_mov_b32_e32 v1, v0
	s_andn2_b64 exec, exec, s[2:3]
	s_cbranch_execnz .LBB3_83
.LBB3_84:
	s_endpgm
	.section	.rodata,"a",@progbits
	.p2align	6, 0x0
	.amdhsa_kernel _ZN9rocsparseL16kernel_calculateILi1024ELi2ELb1EfiiEEvT4_T3_PKS2_S4_PKS1_PKT2_21rocsparse_index_base_S4_S4_S6_S4_S4_S6_S4_PS7_PNS_15floating_traitsIS7_E6data_tEPKSE_
		.amdhsa_group_segment_fixed_size 2048
		.amdhsa_private_segment_fixed_size 0
		.amdhsa_kernarg_size 128
		.amdhsa_user_sgpr_count 2
		.amdhsa_user_sgpr_dispatch_ptr 0
		.amdhsa_user_sgpr_queue_ptr 0
		.amdhsa_user_sgpr_kernarg_segment_ptr 1
		.amdhsa_user_sgpr_dispatch_id 0
		.amdhsa_user_sgpr_kernarg_preload_length 0
		.amdhsa_user_sgpr_kernarg_preload_offset 0
		.amdhsa_user_sgpr_private_segment_size 0
		.amdhsa_uses_dynamic_stack 0
		.amdhsa_enable_private_segment 0
		.amdhsa_system_sgpr_workgroup_id_x 1
		.amdhsa_system_sgpr_workgroup_id_y 0
		.amdhsa_system_sgpr_workgroup_id_z 0
		.amdhsa_system_sgpr_workgroup_info 0
		.amdhsa_system_vgpr_workitem_id 0
		.amdhsa_next_free_vgpr 34
		.amdhsa_next_free_sgpr 50
		.amdhsa_accum_offset 36
		.amdhsa_reserve_vcc 1
		.amdhsa_float_round_mode_32 0
		.amdhsa_float_round_mode_16_64 0
		.amdhsa_float_denorm_mode_32 3
		.amdhsa_float_denorm_mode_16_64 3
		.amdhsa_dx10_clamp 1
		.amdhsa_ieee_mode 1
		.amdhsa_fp16_overflow 0
		.amdhsa_tg_split 0
		.amdhsa_exception_fp_ieee_invalid_op 0
		.amdhsa_exception_fp_denorm_src 0
		.amdhsa_exception_fp_ieee_div_zero 0
		.amdhsa_exception_fp_ieee_overflow 0
		.amdhsa_exception_fp_ieee_underflow 0
		.amdhsa_exception_fp_ieee_inexact 0
		.amdhsa_exception_int_div_zero 0
	.end_amdhsa_kernel
	.section	.text._ZN9rocsparseL16kernel_calculateILi1024ELi2ELb1EfiiEEvT4_T3_PKS2_S4_PKS1_PKT2_21rocsparse_index_base_S4_S4_S6_S4_S4_S6_S4_PS7_PNS_15floating_traitsIS7_E6data_tEPKSE_,"axG",@progbits,_ZN9rocsparseL16kernel_calculateILi1024ELi2ELb1EfiiEEvT4_T3_PKS2_S4_PKS1_PKT2_21rocsparse_index_base_S4_S4_S6_S4_S4_S6_S4_PS7_PNS_15floating_traitsIS7_E6data_tEPKSE_,comdat
.Lfunc_end3:
	.size	_ZN9rocsparseL16kernel_calculateILi1024ELi2ELb1EfiiEEvT4_T3_PKS2_S4_PKS1_PKT2_21rocsparse_index_base_S4_S4_S6_S4_S4_S6_S4_PS7_PNS_15floating_traitsIS7_E6data_tEPKSE_, .Lfunc_end3-_ZN9rocsparseL16kernel_calculateILi1024ELi2ELb1EfiiEEvT4_T3_PKS2_S4_PKS1_PKT2_21rocsparse_index_base_S4_S4_S6_S4_S4_S6_S4_PS7_PNS_15floating_traitsIS7_E6data_tEPKSE_
                                        ; -- End function
	.set _ZN9rocsparseL16kernel_calculateILi1024ELi2ELb1EfiiEEvT4_T3_PKS2_S4_PKS1_PKT2_21rocsparse_index_base_S4_S4_S6_S4_S4_S6_S4_PS7_PNS_15floating_traitsIS7_E6data_tEPKSE_.num_vgpr, 34
	.set _ZN9rocsparseL16kernel_calculateILi1024ELi2ELb1EfiiEEvT4_T3_PKS2_S4_PKS1_PKT2_21rocsparse_index_base_S4_S4_S6_S4_S4_S6_S4_PS7_PNS_15floating_traitsIS7_E6data_tEPKSE_.num_agpr, 0
	.set _ZN9rocsparseL16kernel_calculateILi1024ELi2ELb1EfiiEEvT4_T3_PKS2_S4_PKS1_PKT2_21rocsparse_index_base_S4_S4_S6_S4_S4_S6_S4_PS7_PNS_15floating_traitsIS7_E6data_tEPKSE_.numbered_sgpr, 50
	.set _ZN9rocsparseL16kernel_calculateILi1024ELi2ELb1EfiiEEvT4_T3_PKS2_S4_PKS1_PKT2_21rocsparse_index_base_S4_S4_S6_S4_S4_S6_S4_PS7_PNS_15floating_traitsIS7_E6data_tEPKSE_.num_named_barrier, 0
	.set _ZN9rocsparseL16kernel_calculateILi1024ELi2ELb1EfiiEEvT4_T3_PKS2_S4_PKS1_PKT2_21rocsparse_index_base_S4_S4_S6_S4_S4_S6_S4_PS7_PNS_15floating_traitsIS7_E6data_tEPKSE_.private_seg_size, 0
	.set _ZN9rocsparseL16kernel_calculateILi1024ELi2ELb1EfiiEEvT4_T3_PKS2_S4_PKS1_PKT2_21rocsparse_index_base_S4_S4_S6_S4_S4_S6_S4_PS7_PNS_15floating_traitsIS7_E6data_tEPKSE_.uses_vcc, 1
	.set _ZN9rocsparseL16kernel_calculateILi1024ELi2ELb1EfiiEEvT4_T3_PKS2_S4_PKS1_PKT2_21rocsparse_index_base_S4_S4_S6_S4_S4_S6_S4_PS7_PNS_15floating_traitsIS7_E6data_tEPKSE_.uses_flat_scratch, 0
	.set _ZN9rocsparseL16kernel_calculateILi1024ELi2ELb1EfiiEEvT4_T3_PKS2_S4_PKS1_PKT2_21rocsparse_index_base_S4_S4_S6_S4_S4_S6_S4_PS7_PNS_15floating_traitsIS7_E6data_tEPKSE_.has_dyn_sized_stack, 0
	.set _ZN9rocsparseL16kernel_calculateILi1024ELi2ELb1EfiiEEvT4_T3_PKS2_S4_PKS1_PKT2_21rocsparse_index_base_S4_S4_S6_S4_S4_S6_S4_PS7_PNS_15floating_traitsIS7_E6data_tEPKSE_.has_recursion, 0
	.set _ZN9rocsparseL16kernel_calculateILi1024ELi2ELb1EfiiEEvT4_T3_PKS2_S4_PKS1_PKT2_21rocsparse_index_base_S4_S4_S6_S4_S4_S6_S4_PS7_PNS_15floating_traitsIS7_E6data_tEPKSE_.has_indirect_call, 0
	.section	.AMDGPU.csdata,"",@progbits
; Kernel info:
; codeLenInByte = 3200
; TotalNumSgprs: 56
; NumVgprs: 34
; NumAgprs: 0
; TotalNumVgprs: 34
; ScratchSize: 0
; MemoryBound: 0
; FloatMode: 240
; IeeeMode: 1
; LDSByteSize: 2048 bytes/workgroup (compile time only)
; SGPRBlocks: 6
; VGPRBlocks: 4
; NumSGPRsForWavesPerEU: 56
; NumVGPRsForWavesPerEU: 34
; AccumOffset: 36
; Occupancy: 8
; WaveLimiterHint : 1
; COMPUTE_PGM_RSRC2:SCRATCH_EN: 0
; COMPUTE_PGM_RSRC2:USER_SGPR: 2
; COMPUTE_PGM_RSRC2:TRAP_HANDLER: 0
; COMPUTE_PGM_RSRC2:TGID_X_EN: 1
; COMPUTE_PGM_RSRC2:TGID_Y_EN: 0
; COMPUTE_PGM_RSRC2:TGID_Z_EN: 0
; COMPUTE_PGM_RSRC2:TIDIG_COMP_CNT: 0
; COMPUTE_PGM_RSRC3_GFX90A:ACCUM_OFFSET: 8
; COMPUTE_PGM_RSRC3_GFX90A:TG_SPLIT: 0
	.section	.text._ZN9rocsparseL16kernel_calculateILi1024ELi4ELb1EfiiEEvT4_T3_PKS2_S4_PKS1_PKT2_21rocsparse_index_base_S4_S4_S6_S4_S4_S6_S4_PS7_PNS_15floating_traitsIS7_E6data_tEPKSE_,"axG",@progbits,_ZN9rocsparseL16kernel_calculateILi1024ELi4ELb1EfiiEEvT4_T3_PKS2_S4_PKS1_PKT2_21rocsparse_index_base_S4_S4_S6_S4_S4_S6_S4_PS7_PNS_15floating_traitsIS7_E6data_tEPKSE_,comdat
	.globl	_ZN9rocsparseL16kernel_calculateILi1024ELi4ELb1EfiiEEvT4_T3_PKS2_S4_PKS1_PKT2_21rocsparse_index_base_S4_S4_S6_S4_S4_S6_S4_PS7_PNS_15floating_traitsIS7_E6data_tEPKSE_ ; -- Begin function _ZN9rocsparseL16kernel_calculateILi1024ELi4ELb1EfiiEEvT4_T3_PKS2_S4_PKS1_PKT2_21rocsparse_index_base_S4_S4_S6_S4_S4_S6_S4_PS7_PNS_15floating_traitsIS7_E6data_tEPKSE_
	.p2align	8
	.type	_ZN9rocsparseL16kernel_calculateILi1024ELi4ELb1EfiiEEvT4_T3_PKS2_S4_PKS1_PKT2_21rocsparse_index_base_S4_S4_S6_S4_S4_S6_S4_PS7_PNS_15floating_traitsIS7_E6data_tEPKSE_,@function
_ZN9rocsparseL16kernel_calculateILi1024ELi4ELb1EfiiEEvT4_T3_PKS2_S4_PKS1_PKT2_21rocsparse_index_base_S4_S4_S6_S4_S4_S6_S4_PS7_PNS_15floating_traitsIS7_E6data_tEPKSE_: ; @_ZN9rocsparseL16kernel_calculateILi1024ELi4ELb1EfiiEEvT4_T3_PKS2_S4_PKS1_PKT2_21rocsparse_index_base_S4_S4_S6_S4_S4_S6_S4_PS7_PNS_15floating_traitsIS7_E6data_tEPKSE_
; %bb.0:
	s_load_dword s33, s[0:1], 0x0
	v_lshrrev_b32_e32 v1, 2, v0
	v_lshl_or_b32 v17, s2, 10, v1
	v_and_b32_e32 v16, 3, v0
	v_mov_b32_e32 v18, 0
	s_waitcnt lgkmcnt(0)
	v_cmp_gt_i32_e32 vcc, s33, v17
	s_and_saveexec_b64 s[6:7], vcc
	s_cbranch_execz .LBB4_33
; %bb.1:
	s_load_dword s50, s[0:1], 0x28
	s_load_dwordx8 s[8:15], s[0:1], 0x50
	s_load_dwordx8 s[16:23], s[0:1], 0x30
	;; [unrolled: 1-line block ×3, first 2 shown]
	v_mov_b32_e32 v18, 0
	s_waitcnt lgkmcnt(0)
	v_subrev_u32_e32 v19, s50, v16
	s_mov_b32 s51, 0
	s_movk_i32 s52, 0x1f8
	s_mov_b32 s53, 0x7f800000
	s_branch .LBB4_5
.LBB4_2:                                ;   in Loop: Header=BB4_5 Depth=1
	s_or_b64 exec, exec, s[38:39]
.LBB4_3:                                ;   in Loop: Header=BB4_5 Depth=1
	s_or_b64 exec, exec, s[36:37]
.LBB4_4:                                ;   in Loop: Header=BB4_5 Depth=1
	s_or_b64 exec, exec, s[34:35]
	s_add_i32 s51, s51, 1
	s_cmp_lg_u32 s51, 4
	s_cbranch_scc0 .LBB4_33
.LBB4_5:                                ; =>This Loop Header: Depth=1
                                        ;     Child Loop BB4_9 Depth 2
                                        ;       Child Loop BB4_12 Depth 3
                                        ;       Child Loop BB4_18 Depth 3
	;; [unrolled: 1-line block ×3, first 2 shown]
	v_lshl_add_u32 v2, s51, 8, v17
	v_cmp_gt_i32_e32 vcc, s33, v2
	s_and_saveexec_b64 s[34:35], vcc
	s_cbranch_execz .LBB4_4
; %bb.6:                                ;   in Loop: Header=BB4_5 Depth=1
	v_ashrrev_i32_e32 v3, 31, v2
	v_lshlrev_b64 v[6:7], 2, v[2:3]
	v_lshl_add_u64 v[4:5], s[26:27], 0, v[6:7]
	global_load_dword v3, v[4:5], off
	v_lshl_add_u64 v[4:5], s[24:25], 0, v[6:7]
	global_load_dword v4, v[4:5], off
	s_waitcnt vmcnt(1)
	v_subrev_u32_e32 v3, s50, v3
	s_waitcnt vmcnt(0)
	v_add_u32_e32 v4, v19, v4
	v_cmp_lt_i32_e32 vcc, v4, v3
	s_and_saveexec_b64 s[36:37], vcc
	s_cbranch_execz .LBB4_3
; %bb.7:                                ;   in Loop: Header=BB4_5 Depth=1
	v_lshl_add_u64 v[8:9], s[18:19], 0, v[6:7]
	v_lshl_add_u64 v[6:7], s[16:17], 0, v[6:7]
	global_load_dword v5, v[8:9], off
	s_mov_b64 s[38:39], 0
	global_load_dword v6, v[6:7], off
	s_waitcnt vmcnt(1)
	v_subrev_u32_e32 v20, s50, v5
	s_waitcnt vmcnt(0)
	v_subrev_u32_e32 v21, s50, v6
	v_cmp_lt_i32_e64 s[2:3], v6, v5
	s_branch .LBB4_9
.LBB4_8:                                ;   in Loop: Header=BB4_9 Depth=2
	s_or_b64 exec, exec, s[4:5]
	v_add_f32_e32 v5, v7, v25
	v_cmp_eq_u32_e32 vcc, v2, v6
	v_add_u32_e32 v4, 4, v4
	s_nop 0
	v_cndmask_b32_e32 v5, v25, v5, vcc
	v_cmp_nlg_f32_e64 s[4:5], |v5|, s53
	v_cmp_gt_f32_e64 s[40:41], v18, |v5|
	s_or_b64 s[4:5], s[4:5], s[40:41]
	v_cmp_ge_i32_e32 vcc, v4, v3
	s_or_b64 s[38:39], vcc, s[38:39]
	v_cndmask_b32_e64 v18, |v5|, v18, s[4:5]
	s_andn2_b64 exec, exec, s[38:39]
	s_cbranch_execz .LBB4_2
.LBB4_9:                                ;   Parent Loop BB4_5 Depth=1
                                        ; =>  This Loop Header: Depth=2
                                        ;       Child Loop BB4_12 Depth 3
                                        ;       Child Loop BB4_18 Depth 3
	;; [unrolled: 1-line block ×3, first 2 shown]
	v_ashrrev_i32_e32 v5, 31, v4
	v_lshlrev_b64 v[8:9], 2, v[4:5]
	v_lshl_add_u64 v[6:7], s[28:29], 0, v[8:9]
	global_load_dword v23, v[6:7], off
	v_lshl_add_u64 v[8:9], s[30:31], 0, v[8:9]
	v_mov_b32_e32 v24, 0
	s_waitcnt vmcnt(0)
	v_subrev_u32_e32 v6, s50, v23
	v_ashrrev_i32_e32 v7, 31, v6
	v_lshlrev_b64 v[10:11], 2, v[6:7]
	v_lshl_add_u64 v[12:13], s[18:19], 0, v[10:11]
	global_load_dword v7, v[12:13], off
	v_lshl_add_u64 v[12:13], s[8:9], 0, v[10:11]
	v_lshl_add_u64 v[10:11], s[22:23], 0, v[10:11]
	global_load_dword v12, v[12:13], off
	s_nop 0
	global_load_dword v13, v[10:11], off
	global_load_dword v22, v[8:9], off
	s_waitcnt vmcnt(3)
	v_subrev_u32_e32 v8, s50, v7
	v_ashrrev_i32_e32 v9, 31, v8
	v_lshl_add_u64 v[8:9], v[8:9], 2, s[14:15]
	global_load_dword v7, v[8:9], off
	s_waitcnt vmcnt(2)
	v_cmp_lt_i32_e32 vcc, v13, v12
	v_subrev_u32_e32 v26, s50, v12
	v_subrev_u32_e32 v10, s50, v13
	s_and_b64 s[4:5], s[2:3], vcc
	v_mov_b32_e32 v8, v21
	s_and_saveexec_b64 s[40:41], s[4:5]
	s_cbranch_execz .LBB4_15
; %bb.10:                               ;   in Loop: Header=BB4_9 Depth=2
	v_mov_b32_e32 v24, 0
	s_mov_b64 s[42:43], 0
	v_mov_b32_e32 v8, v21
	s_branch .LBB4_12
.LBB4_11:                               ;   in Loop: Header=BB4_12 Depth=3
	s_or_b64 exec, exec, s[4:5]
	v_cmp_le_i32_e32 vcc, v12, v13
	s_nop 1
	v_addc_co_u32_e32 v8, vcc, 0, v8, vcc
	v_cmp_ge_i32_e32 vcc, v12, v13
	s_nop 1
	v_addc_co_u32_e32 v10, vcc, 0, v10, vcc
	v_cmp_ge_i32_e32 vcc, v8, v20
	v_cmp_ge_i32_e64 s[4:5], v10, v26
	s_or_b64 s[4:5], vcc, s[4:5]
	s_and_b64 s[4:5], exec, s[4:5]
	s_or_b64 s[42:43], s[4:5], s[42:43]
	s_andn2_b64 exec, exec, s[42:43]
	s_cbranch_execz .LBB4_14
.LBB4_12:                               ;   Parent Loop BB4_5 Depth=1
                                        ;     Parent Loop BB4_9 Depth=2
                                        ; =>    This Inner Loop Header: Depth=3
	v_ashrrev_i32_e32 v9, 31, v8
	v_ashrrev_i32_e32 v11, 31, v10
	v_lshl_add_u64 v[12:13], v[8:9], 2, s[20:21]
	v_lshl_add_u64 v[14:15], v[10:11], 2, s[10:11]
	global_load_dword v12, v[12:13], off
	s_nop 0
	global_load_dword v13, v[14:15], off
	s_waitcnt vmcnt(0)
	v_cmp_eq_u32_e32 vcc, v12, v13
	s_and_saveexec_b64 s[4:5], vcc
	s_cbranch_execz .LBB4_11
; %bb.13:                               ;   in Loop: Header=BB4_12 Depth=3
	v_lshl_add_u64 v[14:15], v[10:11], 2, s[12:13]
	global_load_dword v14, v[14:15], off
	v_lshl_add_u64 v[28:29], v[8:9], 2, s[14:15]
	global_load_dword v9, v[28:29], off
	s_waitcnt vmcnt(1)
	v_ashrrev_i32_e32 v15, 31, v14
	v_lshl_add_u64 v[14:15], v[14:15], 2, s[14:15]
	global_load_dword v11, v[14:15], off
	s_waitcnt vmcnt(0)
	v_fmac_f32_e32 v24, v9, v11
	s_branch .LBB4_11
.LBB4_14:                               ;   in Loop: Header=BB4_9 Depth=2
	s_or_b64 exec, exec, s[42:43]
.LBB4_15:                               ;   in Loop: Header=BB4_9 Depth=2
	s_or_b64 exec, exec, s[40:41]
	s_waitcnt vmcnt(1)
	v_sub_f32_e32 v25, v24, v22
	v_cmp_lt_i32_e32 vcc, v10, v26
	s_and_saveexec_b64 s[4:5], vcc
	s_cbranch_execz .LBB4_23
; %bb.16:                               ;   in Loop: Header=BB4_9 Depth=2
	v_ashrrev_i32_e32 v11, 31, v10
	v_lshl_add_u64 v[12:13], v[10:11], 2, s[10:11]
	s_mov_b64 s[40:41], 0
                                        ; implicit-def: $sgpr42_sgpr43
                                        ; implicit-def: $sgpr46_sgpr47
                                        ; implicit-def: $sgpr44_sgpr45
	s_branch .LBB4_18
.LBB4_17:                               ;   in Loop: Header=BB4_18 Depth=3
	s_or_b64 exec, exec, s[48:49]
	s_and_b64 s[48:49], exec, s[46:47]
	s_or_b64 s[40:41], s[48:49], s[40:41]
	s_andn2_b64 s[42:43], s[42:43], exec
	s_and_b64 s[48:49], s[44:45], exec
	s_or_b64 s[42:43], s[42:43], s[48:49]
	s_andn2_b64 exec, exec, s[40:41]
	s_cbranch_execz .LBB4_20
.LBB4_18:                               ;   Parent Loop BB4_5 Depth=1
                                        ;     Parent Loop BB4_9 Depth=2
                                        ; =>    This Inner Loop Header: Depth=3
	global_load_dword v9, v[12:13], off
	v_mov_b64_e32 v[14:15], v[10:11]
	s_or_b64 s[44:45], s[44:45], exec
	s_or_b64 s[46:47], s[46:47], exec
                                        ; implicit-def: $vgpr10_vgpr11
	s_waitcnt vmcnt(0)
	v_subrev_u32_e32 v9, s50, v9
	v_cmp_ne_u32_e32 vcc, v9, v2
	s_and_saveexec_b64 s[48:49], vcc
	s_cbranch_execz .LBB4_17
; %bb.19:                               ;   in Loop: Header=BB4_18 Depth=3
	v_lshl_add_u64 v[10:11], v[14:15], 0, 1
	v_cmp_ge_i32_e32 vcc, v10, v26
	s_andn2_b64 s[46:47], s[46:47], exec
	s_and_b64 s[54:55], vcc, exec
	v_lshl_add_u64 v[12:13], v[12:13], 0, 4
	s_andn2_b64 s[44:45], s[44:45], exec
	s_or_b64 s[46:47], s[46:47], s[54:55]
	s_branch .LBB4_17
.LBB4_20:                               ;   in Loop: Header=BB4_9 Depth=2
	s_or_b64 exec, exec, s[40:41]
	s_and_saveexec_b64 s[40:41], s[42:43]
	s_xor_b64 s[40:41], exec, s[40:41]
	s_cbranch_execz .LBB4_22
; %bb.21:                               ;   in Loop: Header=BB4_9 Depth=2
	v_lshl_add_u64 v[10:11], v[14:15], 2, s[12:13]
	global_load_dword v10, v[10:11], off
	s_waitcnt vmcnt(0)
	v_ashrrev_i32_e32 v11, 31, v10
	v_lshl_add_u64 v[10:11], v[10:11], 2, s[14:15]
	global_load_dword v9, v[10:11], off
	s_waitcnt vmcnt(0)
	v_add_f32_e32 v25, v25, v9
.LBB4_22:                               ;   in Loop: Header=BB4_9 Depth=2
	s_or_b64 exec, exec, s[40:41]
.LBB4_23:                               ;   in Loop: Header=BB4_9 Depth=2
	s_or_b64 exec, exec, s[4:5]
	v_cmp_lt_i32_e32 vcc, v8, v20
	s_and_saveexec_b64 s[4:5], vcc
	s_cbranch_execz .LBB4_31
; %bb.24:                               ;   in Loop: Header=BB4_9 Depth=2
	v_ashrrev_i32_e32 v9, 31, v8
	v_lshl_add_u64 v[10:11], v[8:9], 2, s[20:21]
	s_mov_b64 s[40:41], 0
                                        ; implicit-def: $sgpr42_sgpr43
                                        ; implicit-def: $sgpr46_sgpr47
                                        ; implicit-def: $sgpr44_sgpr45
	s_branch .LBB4_26
.LBB4_25:                               ;   in Loop: Header=BB4_26 Depth=3
	s_or_b64 exec, exec, s[48:49]
	s_and_b64 s[48:49], exec, s[46:47]
	s_or_b64 s[40:41], s[48:49], s[40:41]
	s_andn2_b64 s[42:43], s[42:43], exec
	s_and_b64 s[48:49], s[44:45], exec
	s_or_b64 s[42:43], s[42:43], s[48:49]
	s_andn2_b64 exec, exec, s[40:41]
	s_cbranch_execz .LBB4_28
.LBB4_26:                               ;   Parent Loop BB4_5 Depth=1
                                        ;     Parent Loop BB4_9 Depth=2
                                        ; =>    This Inner Loop Header: Depth=3
	global_load_dword v14, v[10:11], off
	v_mov_b64_e32 v[12:13], v[8:9]
	s_or_b64 s[44:45], s[44:45], exec
	s_or_b64 s[46:47], s[46:47], exec
                                        ; implicit-def: $vgpr8_vgpr9
	s_waitcnt vmcnt(0)
	v_cmp_ne_u32_e32 vcc, v14, v23
	s_and_saveexec_b64 s[48:49], vcc
	s_cbranch_execz .LBB4_25
; %bb.27:                               ;   in Loop: Header=BB4_26 Depth=3
	v_lshl_add_u64 v[8:9], v[12:13], 0, 1
	v_cmp_ge_i32_e32 vcc, v8, v20
	s_andn2_b64 s[46:47], s[46:47], exec
	s_and_b64 s[54:55], vcc, exec
	v_lshl_add_u64 v[10:11], v[10:11], 0, 4
	s_andn2_b64 s[44:45], s[44:45], exec
	s_or_b64 s[46:47], s[46:47], s[54:55]
	s_branch .LBB4_25
.LBB4_28:                               ;   in Loop: Header=BB4_9 Depth=2
	s_or_b64 exec, exec, s[40:41]
	s_and_saveexec_b64 s[40:41], s[42:43]
	s_xor_b64 s[40:41], exec, s[40:41]
	s_cbranch_execz .LBB4_30
; %bb.29:                               ;   in Loop: Header=BB4_9 Depth=2
	v_lshl_add_u64 v[8:9], v[12:13], 2, s[14:15]
	global_load_dword v8, v[8:9], off
	s_waitcnt vmcnt(0)
	v_fmac_f32_e32 v25, v8, v7
.LBB4_30:                               ;   in Loop: Header=BB4_9 Depth=2
	s_or_b64 exec, exec, s[40:41]
.LBB4_31:                               ;   in Loop: Header=BB4_9 Depth=2
	s_or_b64 exec, exec, s[4:5]
	v_sub_f32_e32 v8, v22, v24
	s_waitcnt vmcnt(0)
	v_div_scale_f32 v9, s[4:5], v7, v7, v8
	v_rcp_f32_e32 v10, v9
	v_div_scale_f32 v11, vcc, v8, v7, v8
	v_fma_f32 v12, -v9, v10, 1.0
	v_fmac_f32_e32 v10, v12, v10
	v_mul_f32_e32 v12, v11, v10
	v_fma_f32 v13, -v9, v12, v11
	v_fmac_f32_e32 v12, v13, v10
	v_fma_f32 v9, -v9, v12, v11
	v_div_fmas_f32 v9, v9, v10, v12
	v_div_fixup_f32 v9, v9, v7, v8
	v_cmp_gt_i32_e32 vcc, v2, v6
	s_nop 1
	v_cndmask_b32_e32 v8, v8, v9, vcc
	v_cmp_class_f32_e64 s[40:41], v8, s52
	s_and_saveexec_b64 s[4:5], s[40:41]
	s_cbranch_execz .LBB4_8
; %bb.32:                               ;   in Loop: Header=BB4_9 Depth=2
	v_lshl_add_u64 v[10:11], v[4:5], 2, s[14:15]
	global_store_dword v[10:11], v8, off
	s_branch .LBB4_8
.LBB4_33:
	s_or_b64 exec, exec, s[6:7]
	v_mov_b32_dpp v2, v18 row_shr:1 row_mask:0xf bank_mask:0xf
	v_cmp_lt_f32_e32 vcc, v18, v2
	s_nop 1
	v_cndmask_b32_e32 v2, v18, v2, vcc
	v_cmp_eq_u32_e32 vcc, 3, v16
	s_nop 0
	v_mov_b32_dpp v3, v2 row_shr:2 row_mask:0xf bank_mask:0xf
	s_and_saveexec_b64 s[2:3], vcc
; %bb.34:
	v_cmp_lt_f32_e32 vcc, v2, v3
	v_lshlrev_b32_e32 v1, 2, v1
	s_nop 0
	v_cndmask_b32_e32 v2, v2, v3, vcc
	ds_write_b32 v1, v2
; %bb.35:
	s_or_b64 exec, exec, s[2:3]
	s_movk_i32 s2, 0x80
	v_cmp_gt_u32_e32 vcc, s2, v0
	v_lshlrev_b32_e32 v1, 2, v0
	s_waitcnt lgkmcnt(0)
	s_barrier
	s_and_saveexec_b64 s[2:3], vcc
	s_cbranch_execz .LBB4_37
; %bb.36:
	ds_read2st64_b32 v[2:3], v1 offset1:2
	s_waitcnt lgkmcnt(0)
	v_cmp_lt_f32_e32 vcc, v2, v3
	s_nop 1
	v_cndmask_b32_e32 v2, v2, v3, vcc
	ds_write_b32 v1, v2
.LBB4_37:
	s_or_b64 exec, exec, s[2:3]
	v_cmp_gt_u32_e32 vcc, 64, v0
	s_waitcnt lgkmcnt(0)
	s_barrier
	s_and_saveexec_b64 s[2:3], vcc
	s_cbranch_execz .LBB4_39
; %bb.38:
	ds_read2st64_b32 v[2:3], v1 offset1:1
	s_waitcnt lgkmcnt(0)
	v_cmp_lt_f32_e32 vcc, v2, v3
	s_nop 1
	v_cndmask_b32_e32 v2, v2, v3, vcc
	ds_write_b32 v1, v2
.LBB4_39:
	s_or_b64 exec, exec, s[2:3]
	v_cmp_gt_u32_e32 vcc, 32, v0
	s_waitcnt lgkmcnt(0)
	s_barrier
	s_and_saveexec_b64 s[2:3], vcc
	s_cbranch_execz .LBB4_41
; %bb.40:
	ds_read2_b32 v[2:3], v1 offset1:32
	s_waitcnt lgkmcnt(0)
	v_cmp_lt_f32_e32 vcc, v2, v3
	s_nop 1
	v_cndmask_b32_e32 v2, v2, v3, vcc
	ds_write_b32 v1, v2
.LBB4_41:
	s_or_b64 exec, exec, s[2:3]
	v_cmp_gt_u32_e32 vcc, 16, v0
	s_waitcnt lgkmcnt(0)
	s_barrier
	s_and_saveexec_b64 s[2:3], vcc
	s_cbranch_execz .LBB4_43
; %bb.42:
	ds_read2_b32 v[2:3], v1 offset1:16
	s_waitcnt lgkmcnt(0)
	v_cmp_lt_f32_e32 vcc, v2, v3
	s_nop 1
	v_cndmask_b32_e32 v2, v2, v3, vcc
	ds_write_b32 v1, v2
.LBB4_43:
	;; [unrolled: 14-line block ×5, first 2 shown]
	s_or_b64 exec, exec, s[2:3]
	v_cmp_eq_u32_e32 vcc, 0, v0
	s_waitcnt lgkmcnt(0)
	s_barrier
	s_and_saveexec_b64 s[4:5], vcc
	s_cbranch_execz .LBB4_51
; %bb.50:
	v_mov_b32_e32 v2, 0
	ds_read_b64 v[0:1], v2
	s_waitcnt lgkmcnt(0)
	v_cmp_lt_f32_e64 s[2:3], v0, v1
	s_nop 1
	v_cndmask_b32_e64 v0, v0, v1, s[2:3]
	ds_write_b32 v2, v0
.LBB4_51:
	s_or_b64 exec, exec, s[4:5]
	s_waitcnt lgkmcnt(0)
	s_barrier
	s_and_saveexec_b64 s[2:3], vcc
	s_cbranch_execz .LBB4_55
; %bb.52:
	v_mbcnt_lo_u32_b32 v0, exec_lo, 0
	v_mbcnt_hi_u32_b32 v0, exec_hi, v0
	v_cmp_eq_u32_e32 vcc, 0, v0
	s_and_b64 exec, exec, vcc
	s_cbranch_execz .LBB4_55
; %bb.53:
	s_load_dwordx4 s[0:3], s[0:1], 0x70
	v_mov_b32_e32 v2, 0
	ds_read_b32 v0, v2
	s_waitcnt lgkmcnt(0)
	s_load_dword s6, s[2:3], 0x0
	s_mov_b64 s[2:3], 0
	s_waitcnt lgkmcnt(0)
	v_div_scale_f32 v1, s[4:5], s6, s6, v0
	v_rcp_f32_e32 v3, v1
	v_div_scale_f32 v4, vcc, v0, s6, v0
	s_load_dword s4, s[0:1], 0x0
	v_fma_f32 v5, -v1, v3, 1.0
	v_fmac_f32_e32 v3, v5, v3
	v_mul_f32_e32 v5, v4, v3
	v_fma_f32 v6, -v1, v5, v4
	v_fmac_f32_e32 v5, v6, v3
	v_fma_f32 v1, -v1, v5, v4
	v_div_fmas_f32 v1, v1, v3, v5
	v_div_fixup_f32 v0, v1, s6, v0
	s_waitcnt lgkmcnt(0)
	v_mov_b32_e32 v1, s4
	v_max_f32_e32 v3, v0, v0
.LBB4_54:                               ; =>This Inner Loop Header: Depth=1
	v_max_f32_e32 v0, v1, v1
	v_max_f32_e32 v0, v0, v3
	global_atomic_cmpswap v0, v2, v[0:1], s[0:1] sc0
	s_waitcnt vmcnt(0)
	v_cmp_eq_u32_e32 vcc, v0, v1
	s_or_b64 s[2:3], vcc, s[2:3]
	v_mov_b32_e32 v1, v0
	s_andn2_b64 exec, exec, s[2:3]
	s_cbranch_execnz .LBB4_54
.LBB4_55:
	s_endpgm
	.section	.rodata,"a",@progbits
	.p2align	6, 0x0
	.amdhsa_kernel _ZN9rocsparseL16kernel_calculateILi1024ELi4ELb1EfiiEEvT4_T3_PKS2_S4_PKS1_PKT2_21rocsparse_index_base_S4_S4_S6_S4_S4_S6_S4_PS7_PNS_15floating_traitsIS7_E6data_tEPKSE_
		.amdhsa_group_segment_fixed_size 1024
		.amdhsa_private_segment_fixed_size 0
		.amdhsa_kernarg_size 128
		.amdhsa_user_sgpr_count 2
		.amdhsa_user_sgpr_dispatch_ptr 0
		.amdhsa_user_sgpr_queue_ptr 0
		.amdhsa_user_sgpr_kernarg_segment_ptr 1
		.amdhsa_user_sgpr_dispatch_id 0
		.amdhsa_user_sgpr_kernarg_preload_length 0
		.amdhsa_user_sgpr_kernarg_preload_offset 0
		.amdhsa_user_sgpr_private_segment_size 0
		.amdhsa_uses_dynamic_stack 0
		.amdhsa_enable_private_segment 0
		.amdhsa_system_sgpr_workgroup_id_x 1
		.amdhsa_system_sgpr_workgroup_id_y 0
		.amdhsa_system_sgpr_workgroup_id_z 0
		.amdhsa_system_sgpr_workgroup_info 0
		.amdhsa_system_vgpr_workitem_id 0
		.amdhsa_next_free_vgpr 30
		.amdhsa_next_free_sgpr 56
		.amdhsa_accum_offset 32
		.amdhsa_reserve_vcc 1
		.amdhsa_float_round_mode_32 0
		.amdhsa_float_round_mode_16_64 0
		.amdhsa_float_denorm_mode_32 3
		.amdhsa_float_denorm_mode_16_64 3
		.amdhsa_dx10_clamp 1
		.amdhsa_ieee_mode 1
		.amdhsa_fp16_overflow 0
		.amdhsa_tg_split 0
		.amdhsa_exception_fp_ieee_invalid_op 0
		.amdhsa_exception_fp_denorm_src 0
		.amdhsa_exception_fp_ieee_div_zero 0
		.amdhsa_exception_fp_ieee_overflow 0
		.amdhsa_exception_fp_ieee_underflow 0
		.amdhsa_exception_fp_ieee_inexact 0
		.amdhsa_exception_int_div_zero 0
	.end_amdhsa_kernel
	.section	.text._ZN9rocsparseL16kernel_calculateILi1024ELi4ELb1EfiiEEvT4_T3_PKS2_S4_PKS1_PKT2_21rocsparse_index_base_S4_S4_S6_S4_S4_S6_S4_PS7_PNS_15floating_traitsIS7_E6data_tEPKSE_,"axG",@progbits,_ZN9rocsparseL16kernel_calculateILi1024ELi4ELb1EfiiEEvT4_T3_PKS2_S4_PKS1_PKT2_21rocsparse_index_base_S4_S4_S6_S4_S4_S6_S4_PS7_PNS_15floating_traitsIS7_E6data_tEPKSE_,comdat
.Lfunc_end4:
	.size	_ZN9rocsparseL16kernel_calculateILi1024ELi4ELb1EfiiEEvT4_T3_PKS2_S4_PKS1_PKT2_21rocsparse_index_base_S4_S4_S6_S4_S4_S6_S4_PS7_PNS_15floating_traitsIS7_E6data_tEPKSE_, .Lfunc_end4-_ZN9rocsparseL16kernel_calculateILi1024ELi4ELb1EfiiEEvT4_T3_PKS2_S4_PKS1_PKT2_21rocsparse_index_base_S4_S4_S6_S4_S4_S6_S4_PS7_PNS_15floating_traitsIS7_E6data_tEPKSE_
                                        ; -- End function
	.set _ZN9rocsparseL16kernel_calculateILi1024ELi4ELb1EfiiEEvT4_T3_PKS2_S4_PKS1_PKT2_21rocsparse_index_base_S4_S4_S6_S4_S4_S6_S4_PS7_PNS_15floating_traitsIS7_E6data_tEPKSE_.num_vgpr, 30
	.set _ZN9rocsparseL16kernel_calculateILi1024ELi4ELb1EfiiEEvT4_T3_PKS2_S4_PKS1_PKT2_21rocsparse_index_base_S4_S4_S6_S4_S4_S6_S4_PS7_PNS_15floating_traitsIS7_E6data_tEPKSE_.num_agpr, 0
	.set _ZN9rocsparseL16kernel_calculateILi1024ELi4ELb1EfiiEEvT4_T3_PKS2_S4_PKS1_PKT2_21rocsparse_index_base_S4_S4_S6_S4_S4_S6_S4_PS7_PNS_15floating_traitsIS7_E6data_tEPKSE_.numbered_sgpr, 56
	.set _ZN9rocsparseL16kernel_calculateILi1024ELi4ELb1EfiiEEvT4_T3_PKS2_S4_PKS1_PKT2_21rocsparse_index_base_S4_S4_S6_S4_S4_S6_S4_PS7_PNS_15floating_traitsIS7_E6data_tEPKSE_.num_named_barrier, 0
	.set _ZN9rocsparseL16kernel_calculateILi1024ELi4ELb1EfiiEEvT4_T3_PKS2_S4_PKS1_PKT2_21rocsparse_index_base_S4_S4_S6_S4_S4_S6_S4_PS7_PNS_15floating_traitsIS7_E6data_tEPKSE_.private_seg_size, 0
	.set _ZN9rocsparseL16kernel_calculateILi1024ELi4ELb1EfiiEEvT4_T3_PKS2_S4_PKS1_PKT2_21rocsparse_index_base_S4_S4_S6_S4_S4_S6_S4_PS7_PNS_15floating_traitsIS7_E6data_tEPKSE_.uses_vcc, 1
	.set _ZN9rocsparseL16kernel_calculateILi1024ELi4ELb1EfiiEEvT4_T3_PKS2_S4_PKS1_PKT2_21rocsparse_index_base_S4_S4_S6_S4_S4_S6_S4_PS7_PNS_15floating_traitsIS7_E6data_tEPKSE_.uses_flat_scratch, 0
	.set _ZN9rocsparseL16kernel_calculateILi1024ELi4ELb1EfiiEEvT4_T3_PKS2_S4_PKS1_PKT2_21rocsparse_index_base_S4_S4_S6_S4_S4_S6_S4_PS7_PNS_15floating_traitsIS7_E6data_tEPKSE_.has_dyn_sized_stack, 0
	.set _ZN9rocsparseL16kernel_calculateILi1024ELi4ELb1EfiiEEvT4_T3_PKS2_S4_PKS1_PKT2_21rocsparse_index_base_S4_S4_S6_S4_S4_S6_S4_PS7_PNS_15floating_traitsIS7_E6data_tEPKSE_.has_recursion, 0
	.set _ZN9rocsparseL16kernel_calculateILi1024ELi4ELb1EfiiEEvT4_T3_PKS2_S4_PKS1_PKT2_21rocsparse_index_base_S4_S4_S6_S4_S4_S6_S4_PS7_PNS_15floating_traitsIS7_E6data_tEPKSE_.has_indirect_call, 0
	.section	.AMDGPU.csdata,"",@progbits
; Kernel info:
; codeLenInByte = 2048
; TotalNumSgprs: 62
; NumVgprs: 30
; NumAgprs: 0
; TotalNumVgprs: 30
; ScratchSize: 0
; MemoryBound: 0
; FloatMode: 240
; IeeeMode: 1
; LDSByteSize: 1024 bytes/workgroup (compile time only)
; SGPRBlocks: 7
; VGPRBlocks: 3
; NumSGPRsForWavesPerEU: 62
; NumVGPRsForWavesPerEU: 30
; AccumOffset: 32
; Occupancy: 8
; WaveLimiterHint : 1
; COMPUTE_PGM_RSRC2:SCRATCH_EN: 0
; COMPUTE_PGM_RSRC2:USER_SGPR: 2
; COMPUTE_PGM_RSRC2:TRAP_HANDLER: 0
; COMPUTE_PGM_RSRC2:TGID_X_EN: 1
; COMPUTE_PGM_RSRC2:TGID_Y_EN: 0
; COMPUTE_PGM_RSRC2:TGID_Z_EN: 0
; COMPUTE_PGM_RSRC2:TIDIG_COMP_CNT: 0
; COMPUTE_PGM_RSRC3_GFX90A:ACCUM_OFFSET: 7
; COMPUTE_PGM_RSRC3_GFX90A:TG_SPLIT: 0
	.section	.text._ZN9rocsparseL16kernel_calculateILi1024ELi8ELb1EfiiEEvT4_T3_PKS2_S4_PKS1_PKT2_21rocsparse_index_base_S4_S4_S6_S4_S4_S6_S4_PS7_PNS_15floating_traitsIS7_E6data_tEPKSE_,"axG",@progbits,_ZN9rocsparseL16kernel_calculateILi1024ELi8ELb1EfiiEEvT4_T3_PKS2_S4_PKS1_PKT2_21rocsparse_index_base_S4_S4_S6_S4_S4_S6_S4_PS7_PNS_15floating_traitsIS7_E6data_tEPKSE_,comdat
	.globl	_ZN9rocsparseL16kernel_calculateILi1024ELi8ELb1EfiiEEvT4_T3_PKS2_S4_PKS1_PKT2_21rocsparse_index_base_S4_S4_S6_S4_S4_S6_S4_PS7_PNS_15floating_traitsIS7_E6data_tEPKSE_ ; -- Begin function _ZN9rocsparseL16kernel_calculateILi1024ELi8ELb1EfiiEEvT4_T3_PKS2_S4_PKS1_PKT2_21rocsparse_index_base_S4_S4_S6_S4_S4_S6_S4_PS7_PNS_15floating_traitsIS7_E6data_tEPKSE_
	.p2align	8
	.type	_ZN9rocsparseL16kernel_calculateILi1024ELi8ELb1EfiiEEvT4_T3_PKS2_S4_PKS1_PKT2_21rocsparse_index_base_S4_S4_S6_S4_S4_S6_S4_PS7_PNS_15floating_traitsIS7_E6data_tEPKSE_,@function
_ZN9rocsparseL16kernel_calculateILi1024ELi8ELb1EfiiEEvT4_T3_PKS2_S4_PKS1_PKT2_21rocsparse_index_base_S4_S4_S6_S4_S4_S6_S4_PS7_PNS_15floating_traitsIS7_E6data_tEPKSE_: ; @_ZN9rocsparseL16kernel_calculateILi1024ELi8ELb1EfiiEEvT4_T3_PKS2_S4_PKS1_PKT2_21rocsparse_index_base_S4_S4_S6_S4_S4_S6_S4_PS7_PNS_15floating_traitsIS7_E6data_tEPKSE_
; %bb.0:
	s_load_dword s33, s[0:1], 0x0
	v_lshrrev_b32_e32 v1, 3, v0
	v_lshl_or_b32 v17, s2, 10, v1
	v_and_b32_e32 v16, 7, v0
	v_mov_b32_e32 v18, 0
	s_waitcnt lgkmcnt(0)
	v_cmp_gt_i32_e32 vcc, s33, v17
	s_and_saveexec_b64 s[6:7], vcc
	s_cbranch_execz .LBB5_33
; %bb.1:
	s_load_dword s50, s[0:1], 0x28
	s_load_dwordx8 s[8:15], s[0:1], 0x50
	s_load_dwordx8 s[16:23], s[0:1], 0x30
	;; [unrolled: 1-line block ×3, first 2 shown]
	v_mov_b32_e32 v18, 0
	s_waitcnt lgkmcnt(0)
	v_subrev_u32_e32 v19, s50, v16
	s_mov_b32 s51, 0
	s_movk_i32 s52, 0x1f8
	s_mov_b32 s53, 0x7f800000
	s_branch .LBB5_5
.LBB5_2:                                ;   in Loop: Header=BB5_5 Depth=1
	s_or_b64 exec, exec, s[38:39]
.LBB5_3:                                ;   in Loop: Header=BB5_5 Depth=1
	s_or_b64 exec, exec, s[36:37]
.LBB5_4:                                ;   in Loop: Header=BB5_5 Depth=1
	s_or_b64 exec, exec, s[34:35]
	s_add_i32 s51, s51, 1
	s_cmp_lg_u32 s51, 8
	s_cbranch_scc0 .LBB5_33
.LBB5_5:                                ; =>This Loop Header: Depth=1
                                        ;     Child Loop BB5_9 Depth 2
                                        ;       Child Loop BB5_12 Depth 3
                                        ;       Child Loop BB5_18 Depth 3
	;; [unrolled: 1-line block ×3, first 2 shown]
	v_lshl_add_u32 v2, s51, 7, v17
	v_cmp_gt_i32_e32 vcc, s33, v2
	s_and_saveexec_b64 s[34:35], vcc
	s_cbranch_execz .LBB5_4
; %bb.6:                                ;   in Loop: Header=BB5_5 Depth=1
	v_ashrrev_i32_e32 v3, 31, v2
	v_lshlrev_b64 v[6:7], 2, v[2:3]
	v_lshl_add_u64 v[4:5], s[26:27], 0, v[6:7]
	global_load_dword v3, v[4:5], off
	v_lshl_add_u64 v[4:5], s[24:25], 0, v[6:7]
	global_load_dword v4, v[4:5], off
	s_waitcnt vmcnt(1)
	v_subrev_u32_e32 v3, s50, v3
	s_waitcnt vmcnt(0)
	v_add_u32_e32 v4, v19, v4
	v_cmp_lt_i32_e32 vcc, v4, v3
	s_and_saveexec_b64 s[36:37], vcc
	s_cbranch_execz .LBB5_3
; %bb.7:                                ;   in Loop: Header=BB5_5 Depth=1
	v_lshl_add_u64 v[8:9], s[18:19], 0, v[6:7]
	v_lshl_add_u64 v[6:7], s[16:17], 0, v[6:7]
	global_load_dword v5, v[8:9], off
	s_mov_b64 s[38:39], 0
	global_load_dword v6, v[6:7], off
	s_waitcnt vmcnt(1)
	v_subrev_u32_e32 v20, s50, v5
	s_waitcnt vmcnt(0)
	v_subrev_u32_e32 v21, s50, v6
	v_cmp_lt_i32_e64 s[2:3], v6, v5
	s_branch .LBB5_9
.LBB5_8:                                ;   in Loop: Header=BB5_9 Depth=2
	s_or_b64 exec, exec, s[4:5]
	v_add_f32_e32 v5, v7, v25
	v_cmp_eq_u32_e32 vcc, v2, v6
	v_add_u32_e32 v4, 8, v4
	s_nop 0
	v_cndmask_b32_e32 v5, v25, v5, vcc
	v_cmp_nlg_f32_e64 s[4:5], |v5|, s53
	v_cmp_gt_f32_e64 s[40:41], v18, |v5|
	s_or_b64 s[4:5], s[4:5], s[40:41]
	v_cmp_ge_i32_e32 vcc, v4, v3
	s_or_b64 s[38:39], vcc, s[38:39]
	v_cndmask_b32_e64 v18, |v5|, v18, s[4:5]
	s_andn2_b64 exec, exec, s[38:39]
	s_cbranch_execz .LBB5_2
.LBB5_9:                                ;   Parent Loop BB5_5 Depth=1
                                        ; =>  This Loop Header: Depth=2
                                        ;       Child Loop BB5_12 Depth 3
                                        ;       Child Loop BB5_18 Depth 3
	;; [unrolled: 1-line block ×3, first 2 shown]
	v_ashrrev_i32_e32 v5, 31, v4
	v_lshlrev_b64 v[8:9], 2, v[4:5]
	v_lshl_add_u64 v[6:7], s[28:29], 0, v[8:9]
	global_load_dword v23, v[6:7], off
	v_lshl_add_u64 v[8:9], s[30:31], 0, v[8:9]
	v_mov_b32_e32 v24, 0
	s_waitcnt vmcnt(0)
	v_subrev_u32_e32 v6, s50, v23
	v_ashrrev_i32_e32 v7, 31, v6
	v_lshlrev_b64 v[10:11], 2, v[6:7]
	v_lshl_add_u64 v[12:13], s[18:19], 0, v[10:11]
	global_load_dword v7, v[12:13], off
	v_lshl_add_u64 v[12:13], s[8:9], 0, v[10:11]
	v_lshl_add_u64 v[10:11], s[22:23], 0, v[10:11]
	global_load_dword v12, v[12:13], off
	s_nop 0
	global_load_dword v13, v[10:11], off
	global_load_dword v22, v[8:9], off
	s_waitcnt vmcnt(3)
	v_subrev_u32_e32 v8, s50, v7
	v_ashrrev_i32_e32 v9, 31, v8
	v_lshl_add_u64 v[8:9], v[8:9], 2, s[14:15]
	global_load_dword v7, v[8:9], off
	s_waitcnt vmcnt(2)
	v_cmp_lt_i32_e32 vcc, v13, v12
	v_subrev_u32_e32 v26, s50, v12
	v_subrev_u32_e32 v10, s50, v13
	s_and_b64 s[4:5], s[2:3], vcc
	v_mov_b32_e32 v8, v21
	s_and_saveexec_b64 s[40:41], s[4:5]
	s_cbranch_execz .LBB5_15
; %bb.10:                               ;   in Loop: Header=BB5_9 Depth=2
	v_mov_b32_e32 v24, 0
	s_mov_b64 s[42:43], 0
	v_mov_b32_e32 v8, v21
	s_branch .LBB5_12
.LBB5_11:                               ;   in Loop: Header=BB5_12 Depth=3
	s_or_b64 exec, exec, s[4:5]
	v_cmp_le_i32_e32 vcc, v12, v13
	s_nop 1
	v_addc_co_u32_e32 v8, vcc, 0, v8, vcc
	v_cmp_ge_i32_e32 vcc, v12, v13
	s_nop 1
	v_addc_co_u32_e32 v10, vcc, 0, v10, vcc
	v_cmp_ge_i32_e32 vcc, v8, v20
	v_cmp_ge_i32_e64 s[4:5], v10, v26
	s_or_b64 s[4:5], vcc, s[4:5]
	s_and_b64 s[4:5], exec, s[4:5]
	s_or_b64 s[42:43], s[4:5], s[42:43]
	s_andn2_b64 exec, exec, s[42:43]
	s_cbranch_execz .LBB5_14
.LBB5_12:                               ;   Parent Loop BB5_5 Depth=1
                                        ;     Parent Loop BB5_9 Depth=2
                                        ; =>    This Inner Loop Header: Depth=3
	v_ashrrev_i32_e32 v9, 31, v8
	v_ashrrev_i32_e32 v11, 31, v10
	v_lshl_add_u64 v[12:13], v[8:9], 2, s[20:21]
	v_lshl_add_u64 v[14:15], v[10:11], 2, s[10:11]
	global_load_dword v12, v[12:13], off
	s_nop 0
	global_load_dword v13, v[14:15], off
	s_waitcnt vmcnt(0)
	v_cmp_eq_u32_e32 vcc, v12, v13
	s_and_saveexec_b64 s[4:5], vcc
	s_cbranch_execz .LBB5_11
; %bb.13:                               ;   in Loop: Header=BB5_12 Depth=3
	v_lshl_add_u64 v[14:15], v[10:11], 2, s[12:13]
	global_load_dword v14, v[14:15], off
	v_lshl_add_u64 v[28:29], v[8:9], 2, s[14:15]
	global_load_dword v9, v[28:29], off
	s_waitcnt vmcnt(1)
	v_ashrrev_i32_e32 v15, 31, v14
	v_lshl_add_u64 v[14:15], v[14:15], 2, s[14:15]
	global_load_dword v11, v[14:15], off
	s_waitcnt vmcnt(0)
	v_fmac_f32_e32 v24, v9, v11
	s_branch .LBB5_11
.LBB5_14:                               ;   in Loop: Header=BB5_9 Depth=2
	s_or_b64 exec, exec, s[42:43]
.LBB5_15:                               ;   in Loop: Header=BB5_9 Depth=2
	s_or_b64 exec, exec, s[40:41]
	s_waitcnt vmcnt(1)
	v_sub_f32_e32 v25, v24, v22
	v_cmp_lt_i32_e32 vcc, v10, v26
	s_and_saveexec_b64 s[4:5], vcc
	s_cbranch_execz .LBB5_23
; %bb.16:                               ;   in Loop: Header=BB5_9 Depth=2
	v_ashrrev_i32_e32 v11, 31, v10
	v_lshl_add_u64 v[12:13], v[10:11], 2, s[10:11]
	s_mov_b64 s[40:41], 0
                                        ; implicit-def: $sgpr42_sgpr43
                                        ; implicit-def: $sgpr46_sgpr47
                                        ; implicit-def: $sgpr44_sgpr45
	s_branch .LBB5_18
.LBB5_17:                               ;   in Loop: Header=BB5_18 Depth=3
	s_or_b64 exec, exec, s[48:49]
	s_and_b64 s[48:49], exec, s[46:47]
	s_or_b64 s[40:41], s[48:49], s[40:41]
	s_andn2_b64 s[42:43], s[42:43], exec
	s_and_b64 s[48:49], s[44:45], exec
	s_or_b64 s[42:43], s[42:43], s[48:49]
	s_andn2_b64 exec, exec, s[40:41]
	s_cbranch_execz .LBB5_20
.LBB5_18:                               ;   Parent Loop BB5_5 Depth=1
                                        ;     Parent Loop BB5_9 Depth=2
                                        ; =>    This Inner Loop Header: Depth=3
	global_load_dword v9, v[12:13], off
	v_mov_b64_e32 v[14:15], v[10:11]
	s_or_b64 s[44:45], s[44:45], exec
	s_or_b64 s[46:47], s[46:47], exec
                                        ; implicit-def: $vgpr10_vgpr11
	s_waitcnt vmcnt(0)
	v_subrev_u32_e32 v9, s50, v9
	v_cmp_ne_u32_e32 vcc, v9, v2
	s_and_saveexec_b64 s[48:49], vcc
	s_cbranch_execz .LBB5_17
; %bb.19:                               ;   in Loop: Header=BB5_18 Depth=3
	v_lshl_add_u64 v[10:11], v[14:15], 0, 1
	v_cmp_ge_i32_e32 vcc, v10, v26
	s_andn2_b64 s[46:47], s[46:47], exec
	s_and_b64 s[54:55], vcc, exec
	v_lshl_add_u64 v[12:13], v[12:13], 0, 4
	s_andn2_b64 s[44:45], s[44:45], exec
	s_or_b64 s[46:47], s[46:47], s[54:55]
	s_branch .LBB5_17
.LBB5_20:                               ;   in Loop: Header=BB5_9 Depth=2
	s_or_b64 exec, exec, s[40:41]
	s_and_saveexec_b64 s[40:41], s[42:43]
	s_xor_b64 s[40:41], exec, s[40:41]
	s_cbranch_execz .LBB5_22
; %bb.21:                               ;   in Loop: Header=BB5_9 Depth=2
	v_lshl_add_u64 v[10:11], v[14:15], 2, s[12:13]
	global_load_dword v10, v[10:11], off
	s_waitcnt vmcnt(0)
	v_ashrrev_i32_e32 v11, 31, v10
	v_lshl_add_u64 v[10:11], v[10:11], 2, s[14:15]
	global_load_dword v9, v[10:11], off
	s_waitcnt vmcnt(0)
	v_add_f32_e32 v25, v25, v9
.LBB5_22:                               ;   in Loop: Header=BB5_9 Depth=2
	s_or_b64 exec, exec, s[40:41]
.LBB5_23:                               ;   in Loop: Header=BB5_9 Depth=2
	s_or_b64 exec, exec, s[4:5]
	v_cmp_lt_i32_e32 vcc, v8, v20
	s_and_saveexec_b64 s[4:5], vcc
	s_cbranch_execz .LBB5_31
; %bb.24:                               ;   in Loop: Header=BB5_9 Depth=2
	v_ashrrev_i32_e32 v9, 31, v8
	v_lshl_add_u64 v[10:11], v[8:9], 2, s[20:21]
	s_mov_b64 s[40:41], 0
                                        ; implicit-def: $sgpr42_sgpr43
                                        ; implicit-def: $sgpr46_sgpr47
                                        ; implicit-def: $sgpr44_sgpr45
	s_branch .LBB5_26
.LBB5_25:                               ;   in Loop: Header=BB5_26 Depth=3
	s_or_b64 exec, exec, s[48:49]
	s_and_b64 s[48:49], exec, s[46:47]
	s_or_b64 s[40:41], s[48:49], s[40:41]
	s_andn2_b64 s[42:43], s[42:43], exec
	s_and_b64 s[48:49], s[44:45], exec
	s_or_b64 s[42:43], s[42:43], s[48:49]
	s_andn2_b64 exec, exec, s[40:41]
	s_cbranch_execz .LBB5_28
.LBB5_26:                               ;   Parent Loop BB5_5 Depth=1
                                        ;     Parent Loop BB5_9 Depth=2
                                        ; =>    This Inner Loop Header: Depth=3
	global_load_dword v14, v[10:11], off
	v_mov_b64_e32 v[12:13], v[8:9]
	s_or_b64 s[44:45], s[44:45], exec
	s_or_b64 s[46:47], s[46:47], exec
                                        ; implicit-def: $vgpr8_vgpr9
	s_waitcnt vmcnt(0)
	v_cmp_ne_u32_e32 vcc, v14, v23
	s_and_saveexec_b64 s[48:49], vcc
	s_cbranch_execz .LBB5_25
; %bb.27:                               ;   in Loop: Header=BB5_26 Depth=3
	v_lshl_add_u64 v[8:9], v[12:13], 0, 1
	v_cmp_ge_i32_e32 vcc, v8, v20
	s_andn2_b64 s[46:47], s[46:47], exec
	s_and_b64 s[54:55], vcc, exec
	v_lshl_add_u64 v[10:11], v[10:11], 0, 4
	s_andn2_b64 s[44:45], s[44:45], exec
	s_or_b64 s[46:47], s[46:47], s[54:55]
	s_branch .LBB5_25
.LBB5_28:                               ;   in Loop: Header=BB5_9 Depth=2
	s_or_b64 exec, exec, s[40:41]
	s_and_saveexec_b64 s[40:41], s[42:43]
	s_xor_b64 s[40:41], exec, s[40:41]
	s_cbranch_execz .LBB5_30
; %bb.29:                               ;   in Loop: Header=BB5_9 Depth=2
	v_lshl_add_u64 v[8:9], v[12:13], 2, s[14:15]
	global_load_dword v8, v[8:9], off
	s_waitcnt vmcnt(0)
	v_fmac_f32_e32 v25, v8, v7
.LBB5_30:                               ;   in Loop: Header=BB5_9 Depth=2
	s_or_b64 exec, exec, s[40:41]
.LBB5_31:                               ;   in Loop: Header=BB5_9 Depth=2
	s_or_b64 exec, exec, s[4:5]
	v_sub_f32_e32 v8, v22, v24
	s_waitcnt vmcnt(0)
	v_div_scale_f32 v9, s[4:5], v7, v7, v8
	v_rcp_f32_e32 v10, v9
	v_div_scale_f32 v11, vcc, v8, v7, v8
	v_fma_f32 v12, -v9, v10, 1.0
	v_fmac_f32_e32 v10, v12, v10
	v_mul_f32_e32 v12, v11, v10
	v_fma_f32 v13, -v9, v12, v11
	v_fmac_f32_e32 v12, v13, v10
	v_fma_f32 v9, -v9, v12, v11
	v_div_fmas_f32 v9, v9, v10, v12
	v_div_fixup_f32 v9, v9, v7, v8
	v_cmp_gt_i32_e32 vcc, v2, v6
	s_nop 1
	v_cndmask_b32_e32 v8, v8, v9, vcc
	v_cmp_class_f32_e64 s[40:41], v8, s52
	s_and_saveexec_b64 s[4:5], s[40:41]
	s_cbranch_execz .LBB5_8
; %bb.32:                               ;   in Loop: Header=BB5_9 Depth=2
	v_lshl_add_u64 v[10:11], v[4:5], 2, s[14:15]
	global_store_dword v[10:11], v8, off
	s_branch .LBB5_8
.LBB5_33:
	s_or_b64 exec, exec, s[6:7]
	v_mov_b32_dpp v2, v18 row_shr:1 row_mask:0xf bank_mask:0xf
	v_cmp_lt_f32_e32 vcc, v18, v2
	s_nop 1
	v_cndmask_b32_e32 v2, v18, v2, vcc
	s_nop 1
	v_mov_b32_dpp v3, v2 row_shr:2 row_mask:0xf bank_mask:0xf
	v_cmp_lt_f32_e32 vcc, v2, v3
	s_nop 1
	v_cndmask_b32_e32 v2, v2, v3, vcc
	v_cmp_eq_u32_e32 vcc, 7, v16
	s_nop 0
	v_mov_b32_dpp v3, v2 row_shr:4 row_mask:0xf bank_mask:0xe
	s_and_saveexec_b64 s[2:3], vcc
; %bb.34:
	v_cmp_lt_f32_e32 vcc, v2, v3
	v_lshlrev_b32_e32 v1, 2, v1
	s_nop 0
	v_cndmask_b32_e32 v2, v2, v3, vcc
	ds_write_b32 v1, v2
; %bb.35:
	s_or_b64 exec, exec, s[2:3]
	v_cmp_gt_u32_e32 vcc, 64, v0
	v_lshlrev_b32_e32 v1, 2, v0
	s_waitcnt lgkmcnt(0)
	s_barrier
	s_and_saveexec_b64 s[2:3], vcc
	s_cbranch_execz .LBB5_37
; %bb.36:
	ds_read2st64_b32 v[2:3], v1 offset1:1
	s_waitcnt lgkmcnt(0)
	v_cmp_lt_f32_e32 vcc, v2, v3
	s_nop 1
	v_cndmask_b32_e32 v2, v2, v3, vcc
	ds_write_b32 v1, v2
.LBB5_37:
	s_or_b64 exec, exec, s[2:3]
	v_cmp_gt_u32_e32 vcc, 32, v0
	s_waitcnt lgkmcnt(0)
	s_barrier
	s_and_saveexec_b64 s[2:3], vcc
	s_cbranch_execz .LBB5_39
; %bb.38:
	ds_read2_b32 v[2:3], v1 offset1:32
	s_waitcnt lgkmcnt(0)
	v_cmp_lt_f32_e32 vcc, v2, v3
	s_nop 1
	v_cndmask_b32_e32 v2, v2, v3, vcc
	ds_write_b32 v1, v2
.LBB5_39:
	s_or_b64 exec, exec, s[2:3]
	v_cmp_gt_u32_e32 vcc, 16, v0
	s_waitcnt lgkmcnt(0)
	s_barrier
	s_and_saveexec_b64 s[2:3], vcc
	s_cbranch_execz .LBB5_41
; %bb.40:
	ds_read2_b32 v[2:3], v1 offset1:16
	s_waitcnt lgkmcnt(0)
	v_cmp_lt_f32_e32 vcc, v2, v3
	s_nop 1
	v_cndmask_b32_e32 v2, v2, v3, vcc
	ds_write_b32 v1, v2
.LBB5_41:
	;; [unrolled: 14-line block ×5, first 2 shown]
	s_or_b64 exec, exec, s[2:3]
	v_cmp_eq_u32_e32 vcc, 0, v0
	s_waitcnt lgkmcnt(0)
	s_barrier
	s_and_saveexec_b64 s[4:5], vcc
	s_cbranch_execz .LBB5_49
; %bb.48:
	v_mov_b32_e32 v2, 0
	ds_read_b64 v[0:1], v2
	s_waitcnt lgkmcnt(0)
	v_cmp_lt_f32_e64 s[2:3], v0, v1
	s_nop 1
	v_cndmask_b32_e64 v0, v0, v1, s[2:3]
	ds_write_b32 v2, v0
.LBB5_49:
	s_or_b64 exec, exec, s[4:5]
	s_waitcnt lgkmcnt(0)
	s_barrier
	s_and_saveexec_b64 s[2:3], vcc
	s_cbranch_execz .LBB5_53
; %bb.50:
	v_mbcnt_lo_u32_b32 v0, exec_lo, 0
	v_mbcnt_hi_u32_b32 v0, exec_hi, v0
	v_cmp_eq_u32_e32 vcc, 0, v0
	s_and_b64 exec, exec, vcc
	s_cbranch_execz .LBB5_53
; %bb.51:
	s_load_dwordx4 s[0:3], s[0:1], 0x70
	v_mov_b32_e32 v2, 0
	ds_read_b32 v0, v2
	s_waitcnt lgkmcnt(0)
	s_load_dword s6, s[2:3], 0x0
	s_mov_b64 s[2:3], 0
	s_waitcnt lgkmcnt(0)
	v_div_scale_f32 v1, s[4:5], s6, s6, v0
	v_rcp_f32_e32 v3, v1
	v_div_scale_f32 v4, vcc, v0, s6, v0
	s_load_dword s4, s[0:1], 0x0
	v_fma_f32 v5, -v1, v3, 1.0
	v_fmac_f32_e32 v3, v5, v3
	v_mul_f32_e32 v5, v4, v3
	v_fma_f32 v6, -v1, v5, v4
	v_fmac_f32_e32 v5, v6, v3
	v_fma_f32 v1, -v1, v5, v4
	v_div_fmas_f32 v1, v1, v3, v5
	v_div_fixup_f32 v0, v1, s6, v0
	s_waitcnt lgkmcnt(0)
	v_mov_b32_e32 v1, s4
	v_max_f32_e32 v3, v0, v0
.LBB5_52:                               ; =>This Inner Loop Header: Depth=1
	v_max_f32_e32 v0, v1, v1
	v_max_f32_e32 v0, v0, v3
	global_atomic_cmpswap v0, v2, v[0:1], s[0:1] sc0
	s_waitcnt vmcnt(0)
	v_cmp_eq_u32_e32 vcc, v0, v1
	s_or_b64 s[2:3], vcc, s[2:3]
	v_mov_b32_e32 v1, v0
	s_andn2_b64 exec, exec, s[2:3]
	s_cbranch_execnz .LBB5_52
.LBB5_53:
	s_endpgm
	.section	.rodata,"a",@progbits
	.p2align	6, 0x0
	.amdhsa_kernel _ZN9rocsparseL16kernel_calculateILi1024ELi8ELb1EfiiEEvT4_T3_PKS2_S4_PKS1_PKT2_21rocsparse_index_base_S4_S4_S6_S4_S4_S6_S4_PS7_PNS_15floating_traitsIS7_E6data_tEPKSE_
		.amdhsa_group_segment_fixed_size 512
		.amdhsa_private_segment_fixed_size 0
		.amdhsa_kernarg_size 128
		.amdhsa_user_sgpr_count 2
		.amdhsa_user_sgpr_dispatch_ptr 0
		.amdhsa_user_sgpr_queue_ptr 0
		.amdhsa_user_sgpr_kernarg_segment_ptr 1
		.amdhsa_user_sgpr_dispatch_id 0
		.amdhsa_user_sgpr_kernarg_preload_length 0
		.amdhsa_user_sgpr_kernarg_preload_offset 0
		.amdhsa_user_sgpr_private_segment_size 0
		.amdhsa_uses_dynamic_stack 0
		.amdhsa_enable_private_segment 0
		.amdhsa_system_sgpr_workgroup_id_x 1
		.amdhsa_system_sgpr_workgroup_id_y 0
		.amdhsa_system_sgpr_workgroup_id_z 0
		.amdhsa_system_sgpr_workgroup_info 0
		.amdhsa_system_vgpr_workitem_id 0
		.amdhsa_next_free_vgpr 30
		.amdhsa_next_free_sgpr 56
		.amdhsa_accum_offset 32
		.amdhsa_reserve_vcc 1
		.amdhsa_float_round_mode_32 0
		.amdhsa_float_round_mode_16_64 0
		.amdhsa_float_denorm_mode_32 3
		.amdhsa_float_denorm_mode_16_64 3
		.amdhsa_dx10_clamp 1
		.amdhsa_ieee_mode 1
		.amdhsa_fp16_overflow 0
		.amdhsa_tg_split 0
		.amdhsa_exception_fp_ieee_invalid_op 0
		.amdhsa_exception_fp_denorm_src 0
		.amdhsa_exception_fp_ieee_div_zero 0
		.amdhsa_exception_fp_ieee_overflow 0
		.amdhsa_exception_fp_ieee_underflow 0
		.amdhsa_exception_fp_ieee_inexact 0
		.amdhsa_exception_int_div_zero 0
	.end_amdhsa_kernel
	.section	.text._ZN9rocsparseL16kernel_calculateILi1024ELi8ELb1EfiiEEvT4_T3_PKS2_S4_PKS1_PKT2_21rocsparse_index_base_S4_S4_S6_S4_S4_S6_S4_PS7_PNS_15floating_traitsIS7_E6data_tEPKSE_,"axG",@progbits,_ZN9rocsparseL16kernel_calculateILi1024ELi8ELb1EfiiEEvT4_T3_PKS2_S4_PKS1_PKT2_21rocsparse_index_base_S4_S4_S6_S4_S4_S6_S4_PS7_PNS_15floating_traitsIS7_E6data_tEPKSE_,comdat
.Lfunc_end5:
	.size	_ZN9rocsparseL16kernel_calculateILi1024ELi8ELb1EfiiEEvT4_T3_PKS2_S4_PKS1_PKT2_21rocsparse_index_base_S4_S4_S6_S4_S4_S6_S4_PS7_PNS_15floating_traitsIS7_E6data_tEPKSE_, .Lfunc_end5-_ZN9rocsparseL16kernel_calculateILi1024ELi8ELb1EfiiEEvT4_T3_PKS2_S4_PKS1_PKT2_21rocsparse_index_base_S4_S4_S6_S4_S4_S6_S4_PS7_PNS_15floating_traitsIS7_E6data_tEPKSE_
                                        ; -- End function
	.set _ZN9rocsparseL16kernel_calculateILi1024ELi8ELb1EfiiEEvT4_T3_PKS2_S4_PKS1_PKT2_21rocsparse_index_base_S4_S4_S6_S4_S4_S6_S4_PS7_PNS_15floating_traitsIS7_E6data_tEPKSE_.num_vgpr, 30
	.set _ZN9rocsparseL16kernel_calculateILi1024ELi8ELb1EfiiEEvT4_T3_PKS2_S4_PKS1_PKT2_21rocsparse_index_base_S4_S4_S6_S4_S4_S6_S4_PS7_PNS_15floating_traitsIS7_E6data_tEPKSE_.num_agpr, 0
	.set _ZN9rocsparseL16kernel_calculateILi1024ELi8ELb1EfiiEEvT4_T3_PKS2_S4_PKS1_PKT2_21rocsparse_index_base_S4_S4_S6_S4_S4_S6_S4_PS7_PNS_15floating_traitsIS7_E6data_tEPKSE_.numbered_sgpr, 56
	.set _ZN9rocsparseL16kernel_calculateILi1024ELi8ELb1EfiiEEvT4_T3_PKS2_S4_PKS1_PKT2_21rocsparse_index_base_S4_S4_S6_S4_S4_S6_S4_PS7_PNS_15floating_traitsIS7_E6data_tEPKSE_.num_named_barrier, 0
	.set _ZN9rocsparseL16kernel_calculateILi1024ELi8ELb1EfiiEEvT4_T3_PKS2_S4_PKS1_PKT2_21rocsparse_index_base_S4_S4_S6_S4_S4_S6_S4_PS7_PNS_15floating_traitsIS7_E6data_tEPKSE_.private_seg_size, 0
	.set _ZN9rocsparseL16kernel_calculateILi1024ELi8ELb1EfiiEEvT4_T3_PKS2_S4_PKS1_PKT2_21rocsparse_index_base_S4_S4_S6_S4_S4_S6_S4_PS7_PNS_15floating_traitsIS7_E6data_tEPKSE_.uses_vcc, 1
	.set _ZN9rocsparseL16kernel_calculateILi1024ELi8ELb1EfiiEEvT4_T3_PKS2_S4_PKS1_PKT2_21rocsparse_index_base_S4_S4_S6_S4_S4_S6_S4_PS7_PNS_15floating_traitsIS7_E6data_tEPKSE_.uses_flat_scratch, 0
	.set _ZN9rocsparseL16kernel_calculateILi1024ELi8ELb1EfiiEEvT4_T3_PKS2_S4_PKS1_PKT2_21rocsparse_index_base_S4_S4_S6_S4_S4_S6_S4_PS7_PNS_15floating_traitsIS7_E6data_tEPKSE_.has_dyn_sized_stack, 0
	.set _ZN9rocsparseL16kernel_calculateILi1024ELi8ELb1EfiiEEvT4_T3_PKS2_S4_PKS1_PKT2_21rocsparse_index_base_S4_S4_S6_S4_S4_S6_S4_PS7_PNS_15floating_traitsIS7_E6data_tEPKSE_.has_recursion, 0
	.set _ZN9rocsparseL16kernel_calculateILi1024ELi8ELb1EfiiEEvT4_T3_PKS2_S4_PKS1_PKT2_21rocsparse_index_base_S4_S4_S6_S4_S4_S6_S4_PS7_PNS_15floating_traitsIS7_E6data_tEPKSE_.has_indirect_call, 0
	.section	.AMDGPU.csdata,"",@progbits
; Kernel info:
; codeLenInByte = 2012
; TotalNumSgprs: 62
; NumVgprs: 30
; NumAgprs: 0
; TotalNumVgprs: 30
; ScratchSize: 0
; MemoryBound: 0
; FloatMode: 240
; IeeeMode: 1
; LDSByteSize: 512 bytes/workgroup (compile time only)
; SGPRBlocks: 7
; VGPRBlocks: 3
; NumSGPRsForWavesPerEU: 62
; NumVGPRsForWavesPerEU: 30
; AccumOffset: 32
; Occupancy: 8
; WaveLimiterHint : 1
; COMPUTE_PGM_RSRC2:SCRATCH_EN: 0
; COMPUTE_PGM_RSRC2:USER_SGPR: 2
; COMPUTE_PGM_RSRC2:TRAP_HANDLER: 0
; COMPUTE_PGM_RSRC2:TGID_X_EN: 1
; COMPUTE_PGM_RSRC2:TGID_Y_EN: 0
; COMPUTE_PGM_RSRC2:TGID_Z_EN: 0
; COMPUTE_PGM_RSRC2:TIDIG_COMP_CNT: 0
; COMPUTE_PGM_RSRC3_GFX90A:ACCUM_OFFSET: 7
; COMPUTE_PGM_RSRC3_GFX90A:TG_SPLIT: 0
	.section	.text._ZN9rocsparseL16kernel_calculateILi1024ELi16ELb1EfiiEEvT4_T3_PKS2_S4_PKS1_PKT2_21rocsparse_index_base_S4_S4_S6_S4_S4_S6_S4_PS7_PNS_15floating_traitsIS7_E6data_tEPKSE_,"axG",@progbits,_ZN9rocsparseL16kernel_calculateILi1024ELi16ELb1EfiiEEvT4_T3_PKS2_S4_PKS1_PKT2_21rocsparse_index_base_S4_S4_S6_S4_S4_S6_S4_PS7_PNS_15floating_traitsIS7_E6data_tEPKSE_,comdat
	.globl	_ZN9rocsparseL16kernel_calculateILi1024ELi16ELb1EfiiEEvT4_T3_PKS2_S4_PKS1_PKT2_21rocsparse_index_base_S4_S4_S6_S4_S4_S6_S4_PS7_PNS_15floating_traitsIS7_E6data_tEPKSE_ ; -- Begin function _ZN9rocsparseL16kernel_calculateILi1024ELi16ELb1EfiiEEvT4_T3_PKS2_S4_PKS1_PKT2_21rocsparse_index_base_S4_S4_S6_S4_S4_S6_S4_PS7_PNS_15floating_traitsIS7_E6data_tEPKSE_
	.p2align	8
	.type	_ZN9rocsparseL16kernel_calculateILi1024ELi16ELb1EfiiEEvT4_T3_PKS2_S4_PKS1_PKT2_21rocsparse_index_base_S4_S4_S6_S4_S4_S6_S4_PS7_PNS_15floating_traitsIS7_E6data_tEPKSE_,@function
_ZN9rocsparseL16kernel_calculateILi1024ELi16ELb1EfiiEEvT4_T3_PKS2_S4_PKS1_PKT2_21rocsparse_index_base_S4_S4_S6_S4_S4_S6_S4_PS7_PNS_15floating_traitsIS7_E6data_tEPKSE_: ; @_ZN9rocsparseL16kernel_calculateILi1024ELi16ELb1EfiiEEvT4_T3_PKS2_S4_PKS1_PKT2_21rocsparse_index_base_S4_S4_S6_S4_S4_S6_S4_PS7_PNS_15floating_traitsIS7_E6data_tEPKSE_
; %bb.0:
	s_load_dword s33, s[0:1], 0x0
	v_lshrrev_b32_e32 v1, 4, v0
	v_lshl_or_b32 v17, s2, 10, v1
	v_and_b32_e32 v16, 15, v0
	v_mov_b32_e32 v18, 0
	s_waitcnt lgkmcnt(0)
	v_cmp_gt_i32_e32 vcc, s33, v17
	s_and_saveexec_b64 s[6:7], vcc
	s_cbranch_execz .LBB6_33
; %bb.1:
	s_load_dword s50, s[0:1], 0x28
	s_load_dwordx8 s[8:15], s[0:1], 0x50
	s_load_dwordx8 s[16:23], s[0:1], 0x30
	;; [unrolled: 1-line block ×3, first 2 shown]
	v_mov_b32_e32 v18, 0
	s_waitcnt lgkmcnt(0)
	v_subrev_u32_e32 v19, s50, v16
	s_mov_b32 s51, 0
	s_movk_i32 s52, 0x1f8
	s_mov_b32 s53, 0x7f800000
	s_branch .LBB6_5
.LBB6_2:                                ;   in Loop: Header=BB6_5 Depth=1
	s_or_b64 exec, exec, s[38:39]
.LBB6_3:                                ;   in Loop: Header=BB6_5 Depth=1
	s_or_b64 exec, exec, s[36:37]
.LBB6_4:                                ;   in Loop: Header=BB6_5 Depth=1
	s_or_b64 exec, exec, s[34:35]
	s_add_i32 s51, s51, 1
	s_cmp_lg_u32 s51, 16
	s_cbranch_scc0 .LBB6_33
.LBB6_5:                                ; =>This Loop Header: Depth=1
                                        ;     Child Loop BB6_9 Depth 2
                                        ;       Child Loop BB6_12 Depth 3
                                        ;       Child Loop BB6_18 Depth 3
	;; [unrolled: 1-line block ×3, first 2 shown]
	v_lshl_add_u32 v2, s51, 6, v17
	v_cmp_gt_i32_e32 vcc, s33, v2
	s_and_saveexec_b64 s[34:35], vcc
	s_cbranch_execz .LBB6_4
; %bb.6:                                ;   in Loop: Header=BB6_5 Depth=1
	v_ashrrev_i32_e32 v3, 31, v2
	v_lshlrev_b64 v[6:7], 2, v[2:3]
	v_lshl_add_u64 v[4:5], s[26:27], 0, v[6:7]
	global_load_dword v3, v[4:5], off
	v_lshl_add_u64 v[4:5], s[24:25], 0, v[6:7]
	global_load_dword v4, v[4:5], off
	s_waitcnt vmcnt(1)
	v_subrev_u32_e32 v3, s50, v3
	s_waitcnt vmcnt(0)
	v_add_u32_e32 v4, v19, v4
	v_cmp_lt_i32_e32 vcc, v4, v3
	s_and_saveexec_b64 s[36:37], vcc
	s_cbranch_execz .LBB6_3
; %bb.7:                                ;   in Loop: Header=BB6_5 Depth=1
	v_lshl_add_u64 v[8:9], s[18:19], 0, v[6:7]
	v_lshl_add_u64 v[6:7], s[16:17], 0, v[6:7]
	global_load_dword v5, v[8:9], off
	s_mov_b64 s[38:39], 0
	global_load_dword v6, v[6:7], off
	s_waitcnt vmcnt(1)
	v_subrev_u32_e32 v20, s50, v5
	s_waitcnt vmcnt(0)
	v_subrev_u32_e32 v21, s50, v6
	v_cmp_lt_i32_e64 s[2:3], v6, v5
	s_branch .LBB6_9
.LBB6_8:                                ;   in Loop: Header=BB6_9 Depth=2
	s_or_b64 exec, exec, s[4:5]
	v_add_f32_e32 v5, v7, v25
	v_cmp_eq_u32_e32 vcc, v2, v6
	v_add_u32_e32 v4, 16, v4
	s_nop 0
	v_cndmask_b32_e32 v5, v25, v5, vcc
	v_cmp_nlg_f32_e64 s[4:5], |v5|, s53
	v_cmp_gt_f32_e64 s[40:41], v18, |v5|
	s_or_b64 s[4:5], s[4:5], s[40:41]
	v_cmp_ge_i32_e32 vcc, v4, v3
	s_or_b64 s[38:39], vcc, s[38:39]
	v_cndmask_b32_e64 v18, |v5|, v18, s[4:5]
	s_andn2_b64 exec, exec, s[38:39]
	s_cbranch_execz .LBB6_2
.LBB6_9:                                ;   Parent Loop BB6_5 Depth=1
                                        ; =>  This Loop Header: Depth=2
                                        ;       Child Loop BB6_12 Depth 3
                                        ;       Child Loop BB6_18 Depth 3
	;; [unrolled: 1-line block ×3, first 2 shown]
	v_ashrrev_i32_e32 v5, 31, v4
	v_lshlrev_b64 v[8:9], 2, v[4:5]
	v_lshl_add_u64 v[6:7], s[28:29], 0, v[8:9]
	global_load_dword v23, v[6:7], off
	v_lshl_add_u64 v[8:9], s[30:31], 0, v[8:9]
	v_mov_b32_e32 v24, 0
	s_waitcnt vmcnt(0)
	v_subrev_u32_e32 v6, s50, v23
	v_ashrrev_i32_e32 v7, 31, v6
	v_lshlrev_b64 v[10:11], 2, v[6:7]
	v_lshl_add_u64 v[12:13], s[18:19], 0, v[10:11]
	global_load_dword v7, v[12:13], off
	v_lshl_add_u64 v[12:13], s[8:9], 0, v[10:11]
	v_lshl_add_u64 v[10:11], s[22:23], 0, v[10:11]
	global_load_dword v12, v[12:13], off
	s_nop 0
	global_load_dword v13, v[10:11], off
	global_load_dword v22, v[8:9], off
	s_waitcnt vmcnt(3)
	v_subrev_u32_e32 v8, s50, v7
	v_ashrrev_i32_e32 v9, 31, v8
	v_lshl_add_u64 v[8:9], v[8:9], 2, s[14:15]
	global_load_dword v7, v[8:9], off
	s_waitcnt vmcnt(2)
	v_cmp_lt_i32_e32 vcc, v13, v12
	v_subrev_u32_e32 v26, s50, v12
	v_subrev_u32_e32 v10, s50, v13
	s_and_b64 s[4:5], s[2:3], vcc
	v_mov_b32_e32 v8, v21
	s_and_saveexec_b64 s[40:41], s[4:5]
	s_cbranch_execz .LBB6_15
; %bb.10:                               ;   in Loop: Header=BB6_9 Depth=2
	v_mov_b32_e32 v24, 0
	s_mov_b64 s[42:43], 0
	v_mov_b32_e32 v8, v21
	s_branch .LBB6_12
.LBB6_11:                               ;   in Loop: Header=BB6_12 Depth=3
	s_or_b64 exec, exec, s[4:5]
	v_cmp_le_i32_e32 vcc, v12, v13
	s_nop 1
	v_addc_co_u32_e32 v8, vcc, 0, v8, vcc
	v_cmp_ge_i32_e32 vcc, v12, v13
	s_nop 1
	v_addc_co_u32_e32 v10, vcc, 0, v10, vcc
	v_cmp_ge_i32_e32 vcc, v8, v20
	v_cmp_ge_i32_e64 s[4:5], v10, v26
	s_or_b64 s[4:5], vcc, s[4:5]
	s_and_b64 s[4:5], exec, s[4:5]
	s_or_b64 s[42:43], s[4:5], s[42:43]
	s_andn2_b64 exec, exec, s[42:43]
	s_cbranch_execz .LBB6_14
.LBB6_12:                               ;   Parent Loop BB6_5 Depth=1
                                        ;     Parent Loop BB6_9 Depth=2
                                        ; =>    This Inner Loop Header: Depth=3
	v_ashrrev_i32_e32 v9, 31, v8
	v_ashrrev_i32_e32 v11, 31, v10
	v_lshl_add_u64 v[12:13], v[8:9], 2, s[20:21]
	v_lshl_add_u64 v[14:15], v[10:11], 2, s[10:11]
	global_load_dword v12, v[12:13], off
	s_nop 0
	global_load_dword v13, v[14:15], off
	s_waitcnt vmcnt(0)
	v_cmp_eq_u32_e32 vcc, v12, v13
	s_and_saveexec_b64 s[4:5], vcc
	s_cbranch_execz .LBB6_11
; %bb.13:                               ;   in Loop: Header=BB6_12 Depth=3
	v_lshl_add_u64 v[14:15], v[10:11], 2, s[12:13]
	global_load_dword v14, v[14:15], off
	v_lshl_add_u64 v[28:29], v[8:9], 2, s[14:15]
	global_load_dword v9, v[28:29], off
	s_waitcnt vmcnt(1)
	v_ashrrev_i32_e32 v15, 31, v14
	v_lshl_add_u64 v[14:15], v[14:15], 2, s[14:15]
	global_load_dword v11, v[14:15], off
	s_waitcnt vmcnt(0)
	v_fmac_f32_e32 v24, v9, v11
	s_branch .LBB6_11
.LBB6_14:                               ;   in Loop: Header=BB6_9 Depth=2
	s_or_b64 exec, exec, s[42:43]
.LBB6_15:                               ;   in Loop: Header=BB6_9 Depth=2
	s_or_b64 exec, exec, s[40:41]
	s_waitcnt vmcnt(1)
	v_sub_f32_e32 v25, v24, v22
	v_cmp_lt_i32_e32 vcc, v10, v26
	s_and_saveexec_b64 s[4:5], vcc
	s_cbranch_execz .LBB6_23
; %bb.16:                               ;   in Loop: Header=BB6_9 Depth=2
	v_ashrrev_i32_e32 v11, 31, v10
	v_lshl_add_u64 v[12:13], v[10:11], 2, s[10:11]
	s_mov_b64 s[40:41], 0
                                        ; implicit-def: $sgpr42_sgpr43
                                        ; implicit-def: $sgpr46_sgpr47
                                        ; implicit-def: $sgpr44_sgpr45
	s_branch .LBB6_18
.LBB6_17:                               ;   in Loop: Header=BB6_18 Depth=3
	s_or_b64 exec, exec, s[48:49]
	s_and_b64 s[48:49], exec, s[46:47]
	s_or_b64 s[40:41], s[48:49], s[40:41]
	s_andn2_b64 s[42:43], s[42:43], exec
	s_and_b64 s[48:49], s[44:45], exec
	s_or_b64 s[42:43], s[42:43], s[48:49]
	s_andn2_b64 exec, exec, s[40:41]
	s_cbranch_execz .LBB6_20
.LBB6_18:                               ;   Parent Loop BB6_5 Depth=1
                                        ;     Parent Loop BB6_9 Depth=2
                                        ; =>    This Inner Loop Header: Depth=3
	global_load_dword v9, v[12:13], off
	v_mov_b64_e32 v[14:15], v[10:11]
	s_or_b64 s[44:45], s[44:45], exec
	s_or_b64 s[46:47], s[46:47], exec
                                        ; implicit-def: $vgpr10_vgpr11
	s_waitcnt vmcnt(0)
	v_subrev_u32_e32 v9, s50, v9
	v_cmp_ne_u32_e32 vcc, v9, v2
	s_and_saveexec_b64 s[48:49], vcc
	s_cbranch_execz .LBB6_17
; %bb.19:                               ;   in Loop: Header=BB6_18 Depth=3
	v_lshl_add_u64 v[10:11], v[14:15], 0, 1
	v_cmp_ge_i32_e32 vcc, v10, v26
	s_andn2_b64 s[46:47], s[46:47], exec
	s_and_b64 s[54:55], vcc, exec
	v_lshl_add_u64 v[12:13], v[12:13], 0, 4
	s_andn2_b64 s[44:45], s[44:45], exec
	s_or_b64 s[46:47], s[46:47], s[54:55]
	s_branch .LBB6_17
.LBB6_20:                               ;   in Loop: Header=BB6_9 Depth=2
	s_or_b64 exec, exec, s[40:41]
	s_and_saveexec_b64 s[40:41], s[42:43]
	s_xor_b64 s[40:41], exec, s[40:41]
	s_cbranch_execz .LBB6_22
; %bb.21:                               ;   in Loop: Header=BB6_9 Depth=2
	v_lshl_add_u64 v[10:11], v[14:15], 2, s[12:13]
	global_load_dword v10, v[10:11], off
	s_waitcnt vmcnt(0)
	v_ashrrev_i32_e32 v11, 31, v10
	v_lshl_add_u64 v[10:11], v[10:11], 2, s[14:15]
	global_load_dword v9, v[10:11], off
	s_waitcnt vmcnt(0)
	v_add_f32_e32 v25, v25, v9
.LBB6_22:                               ;   in Loop: Header=BB6_9 Depth=2
	s_or_b64 exec, exec, s[40:41]
.LBB6_23:                               ;   in Loop: Header=BB6_9 Depth=2
	s_or_b64 exec, exec, s[4:5]
	v_cmp_lt_i32_e32 vcc, v8, v20
	s_and_saveexec_b64 s[4:5], vcc
	s_cbranch_execz .LBB6_31
; %bb.24:                               ;   in Loop: Header=BB6_9 Depth=2
	v_ashrrev_i32_e32 v9, 31, v8
	v_lshl_add_u64 v[10:11], v[8:9], 2, s[20:21]
	s_mov_b64 s[40:41], 0
                                        ; implicit-def: $sgpr42_sgpr43
                                        ; implicit-def: $sgpr46_sgpr47
                                        ; implicit-def: $sgpr44_sgpr45
	s_branch .LBB6_26
.LBB6_25:                               ;   in Loop: Header=BB6_26 Depth=3
	s_or_b64 exec, exec, s[48:49]
	s_and_b64 s[48:49], exec, s[46:47]
	s_or_b64 s[40:41], s[48:49], s[40:41]
	s_andn2_b64 s[42:43], s[42:43], exec
	s_and_b64 s[48:49], s[44:45], exec
	s_or_b64 s[42:43], s[42:43], s[48:49]
	s_andn2_b64 exec, exec, s[40:41]
	s_cbranch_execz .LBB6_28
.LBB6_26:                               ;   Parent Loop BB6_5 Depth=1
                                        ;     Parent Loop BB6_9 Depth=2
                                        ; =>    This Inner Loop Header: Depth=3
	global_load_dword v14, v[10:11], off
	v_mov_b64_e32 v[12:13], v[8:9]
	s_or_b64 s[44:45], s[44:45], exec
	s_or_b64 s[46:47], s[46:47], exec
                                        ; implicit-def: $vgpr8_vgpr9
	s_waitcnt vmcnt(0)
	v_cmp_ne_u32_e32 vcc, v14, v23
	s_and_saveexec_b64 s[48:49], vcc
	s_cbranch_execz .LBB6_25
; %bb.27:                               ;   in Loop: Header=BB6_26 Depth=3
	v_lshl_add_u64 v[8:9], v[12:13], 0, 1
	v_cmp_ge_i32_e32 vcc, v8, v20
	s_andn2_b64 s[46:47], s[46:47], exec
	s_and_b64 s[54:55], vcc, exec
	v_lshl_add_u64 v[10:11], v[10:11], 0, 4
	s_andn2_b64 s[44:45], s[44:45], exec
	s_or_b64 s[46:47], s[46:47], s[54:55]
	s_branch .LBB6_25
.LBB6_28:                               ;   in Loop: Header=BB6_9 Depth=2
	s_or_b64 exec, exec, s[40:41]
	s_and_saveexec_b64 s[40:41], s[42:43]
	s_xor_b64 s[40:41], exec, s[40:41]
	s_cbranch_execz .LBB6_30
; %bb.29:                               ;   in Loop: Header=BB6_9 Depth=2
	v_lshl_add_u64 v[8:9], v[12:13], 2, s[14:15]
	global_load_dword v8, v[8:9], off
	s_waitcnt vmcnt(0)
	v_fmac_f32_e32 v25, v8, v7
.LBB6_30:                               ;   in Loop: Header=BB6_9 Depth=2
	s_or_b64 exec, exec, s[40:41]
.LBB6_31:                               ;   in Loop: Header=BB6_9 Depth=2
	s_or_b64 exec, exec, s[4:5]
	v_sub_f32_e32 v8, v22, v24
	s_waitcnt vmcnt(0)
	v_div_scale_f32 v9, s[4:5], v7, v7, v8
	v_rcp_f32_e32 v10, v9
	v_div_scale_f32 v11, vcc, v8, v7, v8
	v_fma_f32 v12, -v9, v10, 1.0
	v_fmac_f32_e32 v10, v12, v10
	v_mul_f32_e32 v12, v11, v10
	v_fma_f32 v13, -v9, v12, v11
	v_fmac_f32_e32 v12, v13, v10
	v_fma_f32 v9, -v9, v12, v11
	v_div_fmas_f32 v9, v9, v10, v12
	v_div_fixup_f32 v9, v9, v7, v8
	v_cmp_gt_i32_e32 vcc, v2, v6
	s_nop 1
	v_cndmask_b32_e32 v8, v8, v9, vcc
	v_cmp_class_f32_e64 s[40:41], v8, s52
	s_and_saveexec_b64 s[4:5], s[40:41]
	s_cbranch_execz .LBB6_8
; %bb.32:                               ;   in Loop: Header=BB6_9 Depth=2
	v_lshl_add_u64 v[10:11], v[4:5], 2, s[14:15]
	global_store_dword v[10:11], v8, off
	s_branch .LBB6_8
.LBB6_33:
	s_or_b64 exec, exec, s[6:7]
	v_mov_b32_dpp v2, v18 row_shr:1 row_mask:0xf bank_mask:0xf
	v_cmp_lt_f32_e32 vcc, v18, v2
	s_nop 1
	v_cndmask_b32_e32 v2, v18, v2, vcc
	s_nop 1
	v_mov_b32_dpp v3, v2 row_shr:2 row_mask:0xf bank_mask:0xf
	v_cmp_lt_f32_e32 vcc, v2, v3
	s_nop 1
	v_cndmask_b32_e32 v2, v2, v3, vcc
	s_nop 1
	v_mov_b32_dpp v3, v2 row_shr:4 row_mask:0xf bank_mask:0xe
	v_cmp_lt_f32_e32 vcc, v2, v3
	s_nop 1
	v_cndmask_b32_e32 v2, v2, v3, vcc
	v_cmp_eq_u32_e32 vcc, 15, v16
	s_nop 0
	v_mov_b32_dpp v3, v2 row_shr:8 row_mask:0xf bank_mask:0xc
	s_and_saveexec_b64 s[2:3], vcc
; %bb.34:
	v_cmp_lt_f32_e32 vcc, v2, v3
	v_lshlrev_b32_e32 v1, 2, v1
	s_nop 0
	v_cndmask_b32_e32 v2, v2, v3, vcc
	ds_write_b32 v1, v2
; %bb.35:
	s_or_b64 exec, exec, s[2:3]
	v_cmp_gt_u32_e32 vcc, 32, v0
	v_lshlrev_b32_e32 v1, 2, v0
	s_waitcnt lgkmcnt(0)
	s_barrier
	s_and_saveexec_b64 s[2:3], vcc
	s_cbranch_execz .LBB6_37
; %bb.36:
	ds_read2_b32 v[2:3], v1 offset1:32
	s_waitcnt lgkmcnt(0)
	v_cmp_lt_f32_e32 vcc, v2, v3
	s_nop 1
	v_cndmask_b32_e32 v2, v2, v3, vcc
	ds_write_b32 v1, v2
.LBB6_37:
	s_or_b64 exec, exec, s[2:3]
	v_cmp_gt_u32_e32 vcc, 16, v0
	s_waitcnt lgkmcnt(0)
	s_barrier
	s_and_saveexec_b64 s[2:3], vcc
	s_cbranch_execz .LBB6_39
; %bb.38:
	ds_read2_b32 v[2:3], v1 offset1:16
	s_waitcnt lgkmcnt(0)
	v_cmp_lt_f32_e32 vcc, v2, v3
	s_nop 1
	v_cndmask_b32_e32 v2, v2, v3, vcc
	ds_write_b32 v1, v2
.LBB6_39:
	s_or_b64 exec, exec, s[2:3]
	v_cmp_gt_u32_e32 vcc, 8, v0
	;; [unrolled: 14-line block ×4, first 2 shown]
	s_waitcnt lgkmcnt(0)
	s_barrier
	s_and_saveexec_b64 s[2:3], vcc
	s_cbranch_execz .LBB6_45
; %bb.44:
	ds_read2_b32 v[2:3], v1 offset1:2
	s_waitcnt lgkmcnt(0)
	v_cmp_lt_f32_e32 vcc, v2, v3
	s_nop 1
	v_cndmask_b32_e32 v2, v2, v3, vcc
	ds_write_b32 v1, v2
.LBB6_45:
	s_or_b64 exec, exec, s[2:3]
	v_cmp_eq_u32_e32 vcc, 0, v0
	s_waitcnt lgkmcnt(0)
	s_barrier
	s_and_saveexec_b64 s[4:5], vcc
	s_cbranch_execz .LBB6_47
; %bb.46:
	v_mov_b32_e32 v2, 0
	ds_read_b64 v[0:1], v2
	s_waitcnt lgkmcnt(0)
	v_cmp_lt_f32_e64 s[2:3], v0, v1
	s_nop 1
	v_cndmask_b32_e64 v0, v0, v1, s[2:3]
	ds_write_b32 v2, v0
.LBB6_47:
	s_or_b64 exec, exec, s[4:5]
	s_waitcnt lgkmcnt(0)
	s_barrier
	s_and_saveexec_b64 s[2:3], vcc
	s_cbranch_execz .LBB6_51
; %bb.48:
	v_mbcnt_lo_u32_b32 v0, exec_lo, 0
	v_mbcnt_hi_u32_b32 v0, exec_hi, v0
	v_cmp_eq_u32_e32 vcc, 0, v0
	s_and_b64 exec, exec, vcc
	s_cbranch_execz .LBB6_51
; %bb.49:
	s_load_dwordx4 s[0:3], s[0:1], 0x70
	v_mov_b32_e32 v2, 0
	ds_read_b32 v0, v2
	s_waitcnt lgkmcnt(0)
	s_load_dword s6, s[2:3], 0x0
	s_mov_b64 s[2:3], 0
	s_waitcnt lgkmcnt(0)
	v_div_scale_f32 v1, s[4:5], s6, s6, v0
	v_rcp_f32_e32 v3, v1
	v_div_scale_f32 v4, vcc, v0, s6, v0
	s_load_dword s4, s[0:1], 0x0
	v_fma_f32 v5, -v1, v3, 1.0
	v_fmac_f32_e32 v3, v5, v3
	v_mul_f32_e32 v5, v4, v3
	v_fma_f32 v6, -v1, v5, v4
	v_fmac_f32_e32 v5, v6, v3
	v_fma_f32 v1, -v1, v5, v4
	v_div_fmas_f32 v1, v1, v3, v5
	v_div_fixup_f32 v0, v1, s6, v0
	s_waitcnt lgkmcnt(0)
	v_mov_b32_e32 v1, s4
	v_max_f32_e32 v3, v0, v0
.LBB6_50:                               ; =>This Inner Loop Header: Depth=1
	v_max_f32_e32 v0, v1, v1
	v_max_f32_e32 v0, v0, v3
	global_atomic_cmpswap v0, v2, v[0:1], s[0:1] sc0
	s_waitcnt vmcnt(0)
	v_cmp_eq_u32_e32 vcc, v0, v1
	s_or_b64 s[2:3], vcc, s[2:3]
	v_mov_b32_e32 v1, v0
	s_andn2_b64 exec, exec, s[2:3]
	s_cbranch_execnz .LBB6_50
.LBB6_51:
	s_endpgm
	.section	.rodata,"a",@progbits
	.p2align	6, 0x0
	.amdhsa_kernel _ZN9rocsparseL16kernel_calculateILi1024ELi16ELb1EfiiEEvT4_T3_PKS2_S4_PKS1_PKT2_21rocsparse_index_base_S4_S4_S6_S4_S4_S6_S4_PS7_PNS_15floating_traitsIS7_E6data_tEPKSE_
		.amdhsa_group_segment_fixed_size 256
		.amdhsa_private_segment_fixed_size 0
		.amdhsa_kernarg_size 128
		.amdhsa_user_sgpr_count 2
		.amdhsa_user_sgpr_dispatch_ptr 0
		.amdhsa_user_sgpr_queue_ptr 0
		.amdhsa_user_sgpr_kernarg_segment_ptr 1
		.amdhsa_user_sgpr_dispatch_id 0
		.amdhsa_user_sgpr_kernarg_preload_length 0
		.amdhsa_user_sgpr_kernarg_preload_offset 0
		.amdhsa_user_sgpr_private_segment_size 0
		.amdhsa_uses_dynamic_stack 0
		.amdhsa_enable_private_segment 0
		.amdhsa_system_sgpr_workgroup_id_x 1
		.amdhsa_system_sgpr_workgroup_id_y 0
		.amdhsa_system_sgpr_workgroup_id_z 0
		.amdhsa_system_sgpr_workgroup_info 0
		.amdhsa_system_vgpr_workitem_id 0
		.amdhsa_next_free_vgpr 30
		.amdhsa_next_free_sgpr 56
		.amdhsa_accum_offset 32
		.amdhsa_reserve_vcc 1
		.amdhsa_float_round_mode_32 0
		.amdhsa_float_round_mode_16_64 0
		.amdhsa_float_denorm_mode_32 3
		.amdhsa_float_denorm_mode_16_64 3
		.amdhsa_dx10_clamp 1
		.amdhsa_ieee_mode 1
		.amdhsa_fp16_overflow 0
		.amdhsa_tg_split 0
		.amdhsa_exception_fp_ieee_invalid_op 0
		.amdhsa_exception_fp_denorm_src 0
		.amdhsa_exception_fp_ieee_div_zero 0
		.amdhsa_exception_fp_ieee_overflow 0
		.amdhsa_exception_fp_ieee_underflow 0
		.amdhsa_exception_fp_ieee_inexact 0
		.amdhsa_exception_int_div_zero 0
	.end_amdhsa_kernel
	.section	.text._ZN9rocsparseL16kernel_calculateILi1024ELi16ELb1EfiiEEvT4_T3_PKS2_S4_PKS1_PKT2_21rocsparse_index_base_S4_S4_S6_S4_S4_S6_S4_PS7_PNS_15floating_traitsIS7_E6data_tEPKSE_,"axG",@progbits,_ZN9rocsparseL16kernel_calculateILi1024ELi16ELb1EfiiEEvT4_T3_PKS2_S4_PKS1_PKT2_21rocsparse_index_base_S4_S4_S6_S4_S4_S6_S4_PS7_PNS_15floating_traitsIS7_E6data_tEPKSE_,comdat
.Lfunc_end6:
	.size	_ZN9rocsparseL16kernel_calculateILi1024ELi16ELb1EfiiEEvT4_T3_PKS2_S4_PKS1_PKT2_21rocsparse_index_base_S4_S4_S6_S4_S4_S6_S4_PS7_PNS_15floating_traitsIS7_E6data_tEPKSE_, .Lfunc_end6-_ZN9rocsparseL16kernel_calculateILi1024ELi16ELb1EfiiEEvT4_T3_PKS2_S4_PKS1_PKT2_21rocsparse_index_base_S4_S4_S6_S4_S4_S6_S4_PS7_PNS_15floating_traitsIS7_E6data_tEPKSE_
                                        ; -- End function
	.set _ZN9rocsparseL16kernel_calculateILi1024ELi16ELb1EfiiEEvT4_T3_PKS2_S4_PKS1_PKT2_21rocsparse_index_base_S4_S4_S6_S4_S4_S6_S4_PS7_PNS_15floating_traitsIS7_E6data_tEPKSE_.num_vgpr, 30
	.set _ZN9rocsparseL16kernel_calculateILi1024ELi16ELb1EfiiEEvT4_T3_PKS2_S4_PKS1_PKT2_21rocsparse_index_base_S4_S4_S6_S4_S4_S6_S4_PS7_PNS_15floating_traitsIS7_E6data_tEPKSE_.num_agpr, 0
	.set _ZN9rocsparseL16kernel_calculateILi1024ELi16ELb1EfiiEEvT4_T3_PKS2_S4_PKS1_PKT2_21rocsparse_index_base_S4_S4_S6_S4_S4_S6_S4_PS7_PNS_15floating_traitsIS7_E6data_tEPKSE_.numbered_sgpr, 56
	.set _ZN9rocsparseL16kernel_calculateILi1024ELi16ELb1EfiiEEvT4_T3_PKS2_S4_PKS1_PKT2_21rocsparse_index_base_S4_S4_S6_S4_S4_S6_S4_PS7_PNS_15floating_traitsIS7_E6data_tEPKSE_.num_named_barrier, 0
	.set _ZN9rocsparseL16kernel_calculateILi1024ELi16ELb1EfiiEEvT4_T3_PKS2_S4_PKS1_PKT2_21rocsparse_index_base_S4_S4_S6_S4_S4_S6_S4_PS7_PNS_15floating_traitsIS7_E6data_tEPKSE_.private_seg_size, 0
	.set _ZN9rocsparseL16kernel_calculateILi1024ELi16ELb1EfiiEEvT4_T3_PKS2_S4_PKS1_PKT2_21rocsparse_index_base_S4_S4_S6_S4_S4_S6_S4_PS7_PNS_15floating_traitsIS7_E6data_tEPKSE_.uses_vcc, 1
	.set _ZN9rocsparseL16kernel_calculateILi1024ELi16ELb1EfiiEEvT4_T3_PKS2_S4_PKS1_PKT2_21rocsparse_index_base_S4_S4_S6_S4_S4_S6_S4_PS7_PNS_15floating_traitsIS7_E6data_tEPKSE_.uses_flat_scratch, 0
	.set _ZN9rocsparseL16kernel_calculateILi1024ELi16ELb1EfiiEEvT4_T3_PKS2_S4_PKS1_PKT2_21rocsparse_index_base_S4_S4_S6_S4_S4_S6_S4_PS7_PNS_15floating_traitsIS7_E6data_tEPKSE_.has_dyn_sized_stack, 0
	.set _ZN9rocsparseL16kernel_calculateILi1024ELi16ELb1EfiiEEvT4_T3_PKS2_S4_PKS1_PKT2_21rocsparse_index_base_S4_S4_S6_S4_S4_S6_S4_PS7_PNS_15floating_traitsIS7_E6data_tEPKSE_.has_recursion, 0
	.set _ZN9rocsparseL16kernel_calculateILi1024ELi16ELb1EfiiEEvT4_T3_PKS2_S4_PKS1_PKT2_21rocsparse_index_base_S4_S4_S6_S4_S4_S6_S4_PS7_PNS_15floating_traitsIS7_E6data_tEPKSE_.has_indirect_call, 0
	.section	.AMDGPU.csdata,"",@progbits
; Kernel info:
; codeLenInByte = 1980
; TotalNumSgprs: 62
; NumVgprs: 30
; NumAgprs: 0
; TotalNumVgprs: 30
; ScratchSize: 0
; MemoryBound: 0
; FloatMode: 240
; IeeeMode: 1
; LDSByteSize: 256 bytes/workgroup (compile time only)
; SGPRBlocks: 7
; VGPRBlocks: 3
; NumSGPRsForWavesPerEU: 62
; NumVGPRsForWavesPerEU: 30
; AccumOffset: 32
; Occupancy: 8
; WaveLimiterHint : 1
; COMPUTE_PGM_RSRC2:SCRATCH_EN: 0
; COMPUTE_PGM_RSRC2:USER_SGPR: 2
; COMPUTE_PGM_RSRC2:TRAP_HANDLER: 0
; COMPUTE_PGM_RSRC2:TGID_X_EN: 1
; COMPUTE_PGM_RSRC2:TGID_Y_EN: 0
; COMPUTE_PGM_RSRC2:TGID_Z_EN: 0
; COMPUTE_PGM_RSRC2:TIDIG_COMP_CNT: 0
; COMPUTE_PGM_RSRC3_GFX90A:ACCUM_OFFSET: 7
; COMPUTE_PGM_RSRC3_GFX90A:TG_SPLIT: 0
	.section	.text._ZN9rocsparseL16kernel_calculateILi1024ELi32ELb1EfiiEEvT4_T3_PKS2_S4_PKS1_PKT2_21rocsparse_index_base_S4_S4_S6_S4_S4_S6_S4_PS7_PNS_15floating_traitsIS7_E6data_tEPKSE_,"axG",@progbits,_ZN9rocsparseL16kernel_calculateILi1024ELi32ELb1EfiiEEvT4_T3_PKS2_S4_PKS1_PKT2_21rocsparse_index_base_S4_S4_S6_S4_S4_S6_S4_PS7_PNS_15floating_traitsIS7_E6data_tEPKSE_,comdat
	.globl	_ZN9rocsparseL16kernel_calculateILi1024ELi32ELb1EfiiEEvT4_T3_PKS2_S4_PKS1_PKT2_21rocsparse_index_base_S4_S4_S6_S4_S4_S6_S4_PS7_PNS_15floating_traitsIS7_E6data_tEPKSE_ ; -- Begin function _ZN9rocsparseL16kernel_calculateILi1024ELi32ELb1EfiiEEvT4_T3_PKS2_S4_PKS1_PKT2_21rocsparse_index_base_S4_S4_S6_S4_S4_S6_S4_PS7_PNS_15floating_traitsIS7_E6data_tEPKSE_
	.p2align	8
	.type	_ZN9rocsparseL16kernel_calculateILi1024ELi32ELb1EfiiEEvT4_T3_PKS2_S4_PKS1_PKT2_21rocsparse_index_base_S4_S4_S6_S4_S4_S6_S4_PS7_PNS_15floating_traitsIS7_E6data_tEPKSE_,@function
_ZN9rocsparseL16kernel_calculateILi1024ELi32ELb1EfiiEEvT4_T3_PKS2_S4_PKS1_PKT2_21rocsparse_index_base_S4_S4_S6_S4_S4_S6_S4_PS7_PNS_15floating_traitsIS7_E6data_tEPKSE_: ; @_ZN9rocsparseL16kernel_calculateILi1024ELi32ELb1EfiiEEvT4_T3_PKS2_S4_PKS1_PKT2_21rocsparse_index_base_S4_S4_S6_S4_S4_S6_S4_PS7_PNS_15floating_traitsIS7_E6data_tEPKSE_
; %bb.0:
	s_load_dword s33, s[0:1], 0x0
	v_lshrrev_b32_e32 v1, 5, v0
	v_lshl_or_b32 v17, s2, 10, v1
	v_and_b32_e32 v16, 31, v0
	v_mov_b32_e32 v18, 0
	s_waitcnt lgkmcnt(0)
	v_cmp_gt_i32_e32 vcc, s33, v17
	s_and_saveexec_b64 s[6:7], vcc
	s_cbranch_execz .LBB7_33
; %bb.1:
	s_load_dword s50, s[0:1], 0x28
	s_load_dwordx8 s[8:15], s[0:1], 0x50
	s_load_dwordx8 s[16:23], s[0:1], 0x30
	;; [unrolled: 1-line block ×3, first 2 shown]
	v_mov_b32_e32 v18, 0
	s_waitcnt lgkmcnt(0)
	v_subrev_u32_e32 v19, s50, v16
	s_mov_b32 s51, 0
	s_movk_i32 s52, 0x1f8
	s_mov_b32 s53, 0x7f800000
	s_branch .LBB7_5
.LBB7_2:                                ;   in Loop: Header=BB7_5 Depth=1
	s_or_b64 exec, exec, s[38:39]
.LBB7_3:                                ;   in Loop: Header=BB7_5 Depth=1
	s_or_b64 exec, exec, s[36:37]
.LBB7_4:                                ;   in Loop: Header=BB7_5 Depth=1
	s_or_b64 exec, exec, s[34:35]
	s_add_i32 s51, s51, 1
	s_cmp_lg_u32 s51, 32
	s_cbranch_scc0 .LBB7_33
.LBB7_5:                                ; =>This Loop Header: Depth=1
                                        ;     Child Loop BB7_9 Depth 2
                                        ;       Child Loop BB7_12 Depth 3
                                        ;       Child Loop BB7_18 Depth 3
	;; [unrolled: 1-line block ×3, first 2 shown]
	v_lshl_add_u32 v2, s51, 5, v17
	v_cmp_gt_i32_e32 vcc, s33, v2
	s_and_saveexec_b64 s[34:35], vcc
	s_cbranch_execz .LBB7_4
; %bb.6:                                ;   in Loop: Header=BB7_5 Depth=1
	v_ashrrev_i32_e32 v3, 31, v2
	v_lshlrev_b64 v[6:7], 2, v[2:3]
	v_lshl_add_u64 v[4:5], s[26:27], 0, v[6:7]
	global_load_dword v3, v[4:5], off
	v_lshl_add_u64 v[4:5], s[24:25], 0, v[6:7]
	global_load_dword v4, v[4:5], off
	s_waitcnt vmcnt(1)
	v_subrev_u32_e32 v3, s50, v3
	s_waitcnt vmcnt(0)
	v_add_u32_e32 v4, v19, v4
	v_cmp_lt_i32_e32 vcc, v4, v3
	s_and_saveexec_b64 s[36:37], vcc
	s_cbranch_execz .LBB7_3
; %bb.7:                                ;   in Loop: Header=BB7_5 Depth=1
	v_lshl_add_u64 v[8:9], s[18:19], 0, v[6:7]
	v_lshl_add_u64 v[6:7], s[16:17], 0, v[6:7]
	global_load_dword v5, v[8:9], off
	s_mov_b64 s[38:39], 0
	global_load_dword v6, v[6:7], off
	s_waitcnt vmcnt(1)
	v_subrev_u32_e32 v20, s50, v5
	s_waitcnt vmcnt(0)
	v_subrev_u32_e32 v21, s50, v6
	v_cmp_lt_i32_e64 s[2:3], v6, v5
	s_branch .LBB7_9
.LBB7_8:                                ;   in Loop: Header=BB7_9 Depth=2
	s_or_b64 exec, exec, s[4:5]
	v_add_f32_e32 v5, v7, v25
	v_cmp_eq_u32_e32 vcc, v2, v6
	v_add_u32_e32 v4, 32, v4
	s_nop 0
	v_cndmask_b32_e32 v5, v25, v5, vcc
	v_cmp_nlg_f32_e64 s[4:5], |v5|, s53
	v_cmp_gt_f32_e64 s[40:41], v18, |v5|
	s_or_b64 s[4:5], s[4:5], s[40:41]
	v_cmp_ge_i32_e32 vcc, v4, v3
	s_or_b64 s[38:39], vcc, s[38:39]
	v_cndmask_b32_e64 v18, |v5|, v18, s[4:5]
	s_andn2_b64 exec, exec, s[38:39]
	s_cbranch_execz .LBB7_2
.LBB7_9:                                ;   Parent Loop BB7_5 Depth=1
                                        ; =>  This Loop Header: Depth=2
                                        ;       Child Loop BB7_12 Depth 3
                                        ;       Child Loop BB7_18 Depth 3
	;; [unrolled: 1-line block ×3, first 2 shown]
	v_ashrrev_i32_e32 v5, 31, v4
	v_lshlrev_b64 v[8:9], 2, v[4:5]
	v_lshl_add_u64 v[6:7], s[28:29], 0, v[8:9]
	global_load_dword v23, v[6:7], off
	v_lshl_add_u64 v[8:9], s[30:31], 0, v[8:9]
	v_mov_b32_e32 v24, 0
	s_waitcnt vmcnt(0)
	v_subrev_u32_e32 v6, s50, v23
	v_ashrrev_i32_e32 v7, 31, v6
	v_lshlrev_b64 v[10:11], 2, v[6:7]
	v_lshl_add_u64 v[12:13], s[18:19], 0, v[10:11]
	global_load_dword v7, v[12:13], off
	v_lshl_add_u64 v[12:13], s[8:9], 0, v[10:11]
	v_lshl_add_u64 v[10:11], s[22:23], 0, v[10:11]
	global_load_dword v12, v[12:13], off
	s_nop 0
	global_load_dword v13, v[10:11], off
	global_load_dword v22, v[8:9], off
	s_waitcnt vmcnt(3)
	v_subrev_u32_e32 v8, s50, v7
	v_ashrrev_i32_e32 v9, 31, v8
	v_lshl_add_u64 v[8:9], v[8:9], 2, s[14:15]
	global_load_dword v7, v[8:9], off
	s_waitcnt vmcnt(2)
	v_cmp_lt_i32_e32 vcc, v13, v12
	v_subrev_u32_e32 v26, s50, v12
	v_subrev_u32_e32 v10, s50, v13
	s_and_b64 s[4:5], s[2:3], vcc
	v_mov_b32_e32 v8, v21
	s_and_saveexec_b64 s[40:41], s[4:5]
	s_cbranch_execz .LBB7_15
; %bb.10:                               ;   in Loop: Header=BB7_9 Depth=2
	v_mov_b32_e32 v24, 0
	s_mov_b64 s[42:43], 0
	v_mov_b32_e32 v8, v21
	s_branch .LBB7_12
.LBB7_11:                               ;   in Loop: Header=BB7_12 Depth=3
	s_or_b64 exec, exec, s[4:5]
	v_cmp_le_i32_e32 vcc, v12, v13
	s_nop 1
	v_addc_co_u32_e32 v8, vcc, 0, v8, vcc
	v_cmp_ge_i32_e32 vcc, v12, v13
	s_nop 1
	v_addc_co_u32_e32 v10, vcc, 0, v10, vcc
	v_cmp_ge_i32_e32 vcc, v8, v20
	v_cmp_ge_i32_e64 s[4:5], v10, v26
	s_or_b64 s[4:5], vcc, s[4:5]
	s_and_b64 s[4:5], exec, s[4:5]
	s_or_b64 s[42:43], s[4:5], s[42:43]
	s_andn2_b64 exec, exec, s[42:43]
	s_cbranch_execz .LBB7_14
.LBB7_12:                               ;   Parent Loop BB7_5 Depth=1
                                        ;     Parent Loop BB7_9 Depth=2
                                        ; =>    This Inner Loop Header: Depth=3
	v_ashrrev_i32_e32 v9, 31, v8
	v_ashrrev_i32_e32 v11, 31, v10
	v_lshl_add_u64 v[12:13], v[8:9], 2, s[20:21]
	v_lshl_add_u64 v[14:15], v[10:11], 2, s[10:11]
	global_load_dword v12, v[12:13], off
	s_nop 0
	global_load_dword v13, v[14:15], off
	s_waitcnt vmcnt(0)
	v_cmp_eq_u32_e32 vcc, v12, v13
	s_and_saveexec_b64 s[4:5], vcc
	s_cbranch_execz .LBB7_11
; %bb.13:                               ;   in Loop: Header=BB7_12 Depth=3
	v_lshl_add_u64 v[14:15], v[10:11], 2, s[12:13]
	global_load_dword v14, v[14:15], off
	v_lshl_add_u64 v[28:29], v[8:9], 2, s[14:15]
	global_load_dword v9, v[28:29], off
	s_waitcnt vmcnt(1)
	v_ashrrev_i32_e32 v15, 31, v14
	v_lshl_add_u64 v[14:15], v[14:15], 2, s[14:15]
	global_load_dword v11, v[14:15], off
	s_waitcnt vmcnt(0)
	v_fmac_f32_e32 v24, v9, v11
	s_branch .LBB7_11
.LBB7_14:                               ;   in Loop: Header=BB7_9 Depth=2
	s_or_b64 exec, exec, s[42:43]
.LBB7_15:                               ;   in Loop: Header=BB7_9 Depth=2
	s_or_b64 exec, exec, s[40:41]
	s_waitcnt vmcnt(1)
	v_sub_f32_e32 v25, v24, v22
	v_cmp_lt_i32_e32 vcc, v10, v26
	s_and_saveexec_b64 s[4:5], vcc
	s_cbranch_execz .LBB7_23
; %bb.16:                               ;   in Loop: Header=BB7_9 Depth=2
	v_ashrrev_i32_e32 v11, 31, v10
	v_lshl_add_u64 v[12:13], v[10:11], 2, s[10:11]
	s_mov_b64 s[40:41], 0
                                        ; implicit-def: $sgpr42_sgpr43
                                        ; implicit-def: $sgpr46_sgpr47
                                        ; implicit-def: $sgpr44_sgpr45
	s_branch .LBB7_18
.LBB7_17:                               ;   in Loop: Header=BB7_18 Depth=3
	s_or_b64 exec, exec, s[48:49]
	s_and_b64 s[48:49], exec, s[46:47]
	s_or_b64 s[40:41], s[48:49], s[40:41]
	s_andn2_b64 s[42:43], s[42:43], exec
	s_and_b64 s[48:49], s[44:45], exec
	s_or_b64 s[42:43], s[42:43], s[48:49]
	s_andn2_b64 exec, exec, s[40:41]
	s_cbranch_execz .LBB7_20
.LBB7_18:                               ;   Parent Loop BB7_5 Depth=1
                                        ;     Parent Loop BB7_9 Depth=2
                                        ; =>    This Inner Loop Header: Depth=3
	global_load_dword v9, v[12:13], off
	v_mov_b64_e32 v[14:15], v[10:11]
	s_or_b64 s[44:45], s[44:45], exec
	s_or_b64 s[46:47], s[46:47], exec
                                        ; implicit-def: $vgpr10_vgpr11
	s_waitcnt vmcnt(0)
	v_subrev_u32_e32 v9, s50, v9
	v_cmp_ne_u32_e32 vcc, v9, v2
	s_and_saveexec_b64 s[48:49], vcc
	s_cbranch_execz .LBB7_17
; %bb.19:                               ;   in Loop: Header=BB7_18 Depth=3
	v_lshl_add_u64 v[10:11], v[14:15], 0, 1
	v_cmp_ge_i32_e32 vcc, v10, v26
	s_andn2_b64 s[46:47], s[46:47], exec
	s_and_b64 s[54:55], vcc, exec
	v_lshl_add_u64 v[12:13], v[12:13], 0, 4
	s_andn2_b64 s[44:45], s[44:45], exec
	s_or_b64 s[46:47], s[46:47], s[54:55]
	s_branch .LBB7_17
.LBB7_20:                               ;   in Loop: Header=BB7_9 Depth=2
	s_or_b64 exec, exec, s[40:41]
	s_and_saveexec_b64 s[40:41], s[42:43]
	s_xor_b64 s[40:41], exec, s[40:41]
	s_cbranch_execz .LBB7_22
; %bb.21:                               ;   in Loop: Header=BB7_9 Depth=2
	v_lshl_add_u64 v[10:11], v[14:15], 2, s[12:13]
	global_load_dword v10, v[10:11], off
	s_waitcnt vmcnt(0)
	v_ashrrev_i32_e32 v11, 31, v10
	v_lshl_add_u64 v[10:11], v[10:11], 2, s[14:15]
	global_load_dword v9, v[10:11], off
	s_waitcnt vmcnt(0)
	v_add_f32_e32 v25, v25, v9
.LBB7_22:                               ;   in Loop: Header=BB7_9 Depth=2
	s_or_b64 exec, exec, s[40:41]
.LBB7_23:                               ;   in Loop: Header=BB7_9 Depth=2
	s_or_b64 exec, exec, s[4:5]
	v_cmp_lt_i32_e32 vcc, v8, v20
	s_and_saveexec_b64 s[4:5], vcc
	s_cbranch_execz .LBB7_31
; %bb.24:                               ;   in Loop: Header=BB7_9 Depth=2
	v_ashrrev_i32_e32 v9, 31, v8
	v_lshl_add_u64 v[10:11], v[8:9], 2, s[20:21]
	s_mov_b64 s[40:41], 0
                                        ; implicit-def: $sgpr42_sgpr43
                                        ; implicit-def: $sgpr46_sgpr47
                                        ; implicit-def: $sgpr44_sgpr45
	s_branch .LBB7_26
.LBB7_25:                               ;   in Loop: Header=BB7_26 Depth=3
	s_or_b64 exec, exec, s[48:49]
	s_and_b64 s[48:49], exec, s[46:47]
	s_or_b64 s[40:41], s[48:49], s[40:41]
	s_andn2_b64 s[42:43], s[42:43], exec
	s_and_b64 s[48:49], s[44:45], exec
	s_or_b64 s[42:43], s[42:43], s[48:49]
	s_andn2_b64 exec, exec, s[40:41]
	s_cbranch_execz .LBB7_28
.LBB7_26:                               ;   Parent Loop BB7_5 Depth=1
                                        ;     Parent Loop BB7_9 Depth=2
                                        ; =>    This Inner Loop Header: Depth=3
	global_load_dword v14, v[10:11], off
	v_mov_b64_e32 v[12:13], v[8:9]
	s_or_b64 s[44:45], s[44:45], exec
	s_or_b64 s[46:47], s[46:47], exec
                                        ; implicit-def: $vgpr8_vgpr9
	s_waitcnt vmcnt(0)
	v_cmp_ne_u32_e32 vcc, v14, v23
	s_and_saveexec_b64 s[48:49], vcc
	s_cbranch_execz .LBB7_25
; %bb.27:                               ;   in Loop: Header=BB7_26 Depth=3
	v_lshl_add_u64 v[8:9], v[12:13], 0, 1
	v_cmp_ge_i32_e32 vcc, v8, v20
	s_andn2_b64 s[46:47], s[46:47], exec
	s_and_b64 s[54:55], vcc, exec
	v_lshl_add_u64 v[10:11], v[10:11], 0, 4
	s_andn2_b64 s[44:45], s[44:45], exec
	s_or_b64 s[46:47], s[46:47], s[54:55]
	s_branch .LBB7_25
.LBB7_28:                               ;   in Loop: Header=BB7_9 Depth=2
	s_or_b64 exec, exec, s[40:41]
	s_and_saveexec_b64 s[40:41], s[42:43]
	s_xor_b64 s[40:41], exec, s[40:41]
	s_cbranch_execz .LBB7_30
; %bb.29:                               ;   in Loop: Header=BB7_9 Depth=2
	v_lshl_add_u64 v[8:9], v[12:13], 2, s[14:15]
	global_load_dword v8, v[8:9], off
	s_waitcnt vmcnt(0)
	v_fmac_f32_e32 v25, v8, v7
.LBB7_30:                               ;   in Loop: Header=BB7_9 Depth=2
	s_or_b64 exec, exec, s[40:41]
.LBB7_31:                               ;   in Loop: Header=BB7_9 Depth=2
	s_or_b64 exec, exec, s[4:5]
	v_sub_f32_e32 v8, v22, v24
	s_waitcnt vmcnt(0)
	v_div_scale_f32 v9, s[4:5], v7, v7, v8
	v_rcp_f32_e32 v10, v9
	v_div_scale_f32 v11, vcc, v8, v7, v8
	v_fma_f32 v12, -v9, v10, 1.0
	v_fmac_f32_e32 v10, v12, v10
	v_mul_f32_e32 v12, v11, v10
	v_fma_f32 v13, -v9, v12, v11
	v_fmac_f32_e32 v12, v13, v10
	v_fma_f32 v9, -v9, v12, v11
	v_div_fmas_f32 v9, v9, v10, v12
	v_div_fixup_f32 v9, v9, v7, v8
	v_cmp_gt_i32_e32 vcc, v2, v6
	s_nop 1
	v_cndmask_b32_e32 v8, v8, v9, vcc
	v_cmp_class_f32_e64 s[40:41], v8, s52
	s_and_saveexec_b64 s[4:5], s[40:41]
	s_cbranch_execz .LBB7_8
; %bb.32:                               ;   in Loop: Header=BB7_9 Depth=2
	v_lshl_add_u64 v[10:11], v[4:5], 2, s[14:15]
	global_store_dword v[10:11], v8, off
	s_branch .LBB7_8
.LBB7_33:
	s_or_b64 exec, exec, s[6:7]
	v_mov_b32_dpp v2, v18 row_shr:1 row_mask:0xf bank_mask:0xf
	v_cmp_lt_f32_e32 vcc, v18, v2
	s_nop 1
	v_cndmask_b32_e32 v2, v18, v2, vcc
	s_nop 1
	v_mov_b32_dpp v3, v2 row_shr:2 row_mask:0xf bank_mask:0xf
	v_cmp_lt_f32_e32 vcc, v2, v3
	s_nop 1
	v_cndmask_b32_e32 v2, v2, v3, vcc
	s_nop 1
	;; [unrolled: 5-line block ×3, first 2 shown]
	v_mov_b32_dpp v3, v2 row_shr:8 row_mask:0xf bank_mask:0xc
	v_cmp_lt_f32_e32 vcc, v2, v3
	s_nop 1
	v_cndmask_b32_e32 v2, v2, v3, vcc
	v_cmp_eq_u32_e32 vcc, 31, v16
	s_nop 0
	v_mov_b32_dpp v3, v2 row_bcast:15 row_mask:0xa bank_mask:0xf
	s_and_saveexec_b64 s[2:3], vcc
; %bb.34:
	v_cmp_lt_f32_e32 vcc, v2, v3
	v_lshlrev_b32_e32 v1, 2, v1
	s_nop 0
	v_cndmask_b32_e32 v2, v2, v3, vcc
	ds_write_b32 v1, v2
; %bb.35:
	s_or_b64 exec, exec, s[2:3]
	v_cmp_gt_u32_e32 vcc, 16, v0
	v_lshlrev_b32_e32 v1, 2, v0
	s_waitcnt lgkmcnt(0)
	s_barrier
	s_and_saveexec_b64 s[2:3], vcc
	s_cbranch_execz .LBB7_37
; %bb.36:
	ds_read2_b32 v[2:3], v1 offset1:16
	s_waitcnt lgkmcnt(0)
	v_cmp_lt_f32_e32 vcc, v2, v3
	s_nop 1
	v_cndmask_b32_e32 v2, v2, v3, vcc
	ds_write_b32 v1, v2
.LBB7_37:
	s_or_b64 exec, exec, s[2:3]
	v_cmp_gt_u32_e32 vcc, 8, v0
	s_waitcnt lgkmcnt(0)
	s_barrier
	s_and_saveexec_b64 s[2:3], vcc
	s_cbranch_execz .LBB7_39
; %bb.38:
	ds_read2_b32 v[2:3], v1 offset1:8
	s_waitcnt lgkmcnt(0)
	v_cmp_lt_f32_e32 vcc, v2, v3
	s_nop 1
	v_cndmask_b32_e32 v2, v2, v3, vcc
	ds_write_b32 v1, v2
.LBB7_39:
	s_or_b64 exec, exec, s[2:3]
	v_cmp_gt_u32_e32 vcc, 4, v0
	;; [unrolled: 14-line block ×3, first 2 shown]
	s_waitcnt lgkmcnt(0)
	s_barrier
	s_and_saveexec_b64 s[2:3], vcc
	s_cbranch_execz .LBB7_43
; %bb.42:
	ds_read2_b32 v[2:3], v1 offset1:2
	s_waitcnt lgkmcnt(0)
	v_cmp_lt_f32_e32 vcc, v2, v3
	s_nop 1
	v_cndmask_b32_e32 v2, v2, v3, vcc
	ds_write_b32 v1, v2
.LBB7_43:
	s_or_b64 exec, exec, s[2:3]
	v_cmp_eq_u32_e32 vcc, 0, v0
	s_waitcnt lgkmcnt(0)
	s_barrier
	s_and_saveexec_b64 s[4:5], vcc
	s_cbranch_execz .LBB7_45
; %bb.44:
	v_mov_b32_e32 v2, 0
	ds_read_b64 v[0:1], v2
	s_waitcnt lgkmcnt(0)
	v_cmp_lt_f32_e64 s[2:3], v0, v1
	s_nop 1
	v_cndmask_b32_e64 v0, v0, v1, s[2:3]
	ds_write_b32 v2, v0
.LBB7_45:
	s_or_b64 exec, exec, s[4:5]
	s_waitcnt lgkmcnt(0)
	s_barrier
	s_and_saveexec_b64 s[2:3], vcc
	s_cbranch_execz .LBB7_49
; %bb.46:
	v_mbcnt_lo_u32_b32 v0, exec_lo, 0
	v_mbcnt_hi_u32_b32 v0, exec_hi, v0
	v_cmp_eq_u32_e32 vcc, 0, v0
	s_and_b64 exec, exec, vcc
	s_cbranch_execz .LBB7_49
; %bb.47:
	s_load_dwordx4 s[0:3], s[0:1], 0x70
	v_mov_b32_e32 v2, 0
	ds_read_b32 v0, v2
	s_waitcnt lgkmcnt(0)
	s_load_dword s6, s[2:3], 0x0
	s_mov_b64 s[2:3], 0
	s_waitcnt lgkmcnt(0)
	v_div_scale_f32 v1, s[4:5], s6, s6, v0
	v_rcp_f32_e32 v3, v1
	v_div_scale_f32 v4, vcc, v0, s6, v0
	s_load_dword s4, s[0:1], 0x0
	v_fma_f32 v5, -v1, v3, 1.0
	v_fmac_f32_e32 v3, v5, v3
	v_mul_f32_e32 v5, v4, v3
	v_fma_f32 v6, -v1, v5, v4
	v_fmac_f32_e32 v5, v6, v3
	v_fma_f32 v1, -v1, v5, v4
	v_div_fmas_f32 v1, v1, v3, v5
	v_div_fixup_f32 v0, v1, s6, v0
	s_waitcnt lgkmcnt(0)
	v_mov_b32_e32 v1, s4
	v_max_f32_e32 v3, v0, v0
.LBB7_48:                               ; =>This Inner Loop Header: Depth=1
	v_max_f32_e32 v0, v1, v1
	v_max_f32_e32 v0, v0, v3
	global_atomic_cmpswap v0, v2, v[0:1], s[0:1] sc0
	s_waitcnt vmcnt(0)
	v_cmp_eq_u32_e32 vcc, v0, v1
	s_or_b64 s[2:3], vcc, s[2:3]
	v_mov_b32_e32 v1, v0
	s_andn2_b64 exec, exec, s[2:3]
	s_cbranch_execnz .LBB7_48
.LBB7_49:
	s_endpgm
	.section	.rodata,"a",@progbits
	.p2align	6, 0x0
	.amdhsa_kernel _ZN9rocsparseL16kernel_calculateILi1024ELi32ELb1EfiiEEvT4_T3_PKS2_S4_PKS1_PKT2_21rocsparse_index_base_S4_S4_S6_S4_S4_S6_S4_PS7_PNS_15floating_traitsIS7_E6data_tEPKSE_
		.amdhsa_group_segment_fixed_size 128
		.amdhsa_private_segment_fixed_size 0
		.amdhsa_kernarg_size 128
		.amdhsa_user_sgpr_count 2
		.amdhsa_user_sgpr_dispatch_ptr 0
		.amdhsa_user_sgpr_queue_ptr 0
		.amdhsa_user_sgpr_kernarg_segment_ptr 1
		.amdhsa_user_sgpr_dispatch_id 0
		.amdhsa_user_sgpr_kernarg_preload_length 0
		.amdhsa_user_sgpr_kernarg_preload_offset 0
		.amdhsa_user_sgpr_private_segment_size 0
		.amdhsa_uses_dynamic_stack 0
		.amdhsa_enable_private_segment 0
		.amdhsa_system_sgpr_workgroup_id_x 1
		.amdhsa_system_sgpr_workgroup_id_y 0
		.amdhsa_system_sgpr_workgroup_id_z 0
		.amdhsa_system_sgpr_workgroup_info 0
		.amdhsa_system_vgpr_workitem_id 0
		.amdhsa_next_free_vgpr 30
		.amdhsa_next_free_sgpr 56
		.amdhsa_accum_offset 32
		.amdhsa_reserve_vcc 1
		.amdhsa_float_round_mode_32 0
		.amdhsa_float_round_mode_16_64 0
		.amdhsa_float_denorm_mode_32 3
		.amdhsa_float_denorm_mode_16_64 3
		.amdhsa_dx10_clamp 1
		.amdhsa_ieee_mode 1
		.amdhsa_fp16_overflow 0
		.amdhsa_tg_split 0
		.amdhsa_exception_fp_ieee_invalid_op 0
		.amdhsa_exception_fp_denorm_src 0
		.amdhsa_exception_fp_ieee_div_zero 0
		.amdhsa_exception_fp_ieee_overflow 0
		.amdhsa_exception_fp_ieee_underflow 0
		.amdhsa_exception_fp_ieee_inexact 0
		.amdhsa_exception_int_div_zero 0
	.end_amdhsa_kernel
	.section	.text._ZN9rocsparseL16kernel_calculateILi1024ELi32ELb1EfiiEEvT4_T3_PKS2_S4_PKS1_PKT2_21rocsparse_index_base_S4_S4_S6_S4_S4_S6_S4_PS7_PNS_15floating_traitsIS7_E6data_tEPKSE_,"axG",@progbits,_ZN9rocsparseL16kernel_calculateILi1024ELi32ELb1EfiiEEvT4_T3_PKS2_S4_PKS1_PKT2_21rocsparse_index_base_S4_S4_S6_S4_S4_S6_S4_PS7_PNS_15floating_traitsIS7_E6data_tEPKSE_,comdat
.Lfunc_end7:
	.size	_ZN9rocsparseL16kernel_calculateILi1024ELi32ELb1EfiiEEvT4_T3_PKS2_S4_PKS1_PKT2_21rocsparse_index_base_S4_S4_S6_S4_S4_S6_S4_PS7_PNS_15floating_traitsIS7_E6data_tEPKSE_, .Lfunc_end7-_ZN9rocsparseL16kernel_calculateILi1024ELi32ELb1EfiiEEvT4_T3_PKS2_S4_PKS1_PKT2_21rocsparse_index_base_S4_S4_S6_S4_S4_S6_S4_PS7_PNS_15floating_traitsIS7_E6data_tEPKSE_
                                        ; -- End function
	.set _ZN9rocsparseL16kernel_calculateILi1024ELi32ELb1EfiiEEvT4_T3_PKS2_S4_PKS1_PKT2_21rocsparse_index_base_S4_S4_S6_S4_S4_S6_S4_PS7_PNS_15floating_traitsIS7_E6data_tEPKSE_.num_vgpr, 30
	.set _ZN9rocsparseL16kernel_calculateILi1024ELi32ELb1EfiiEEvT4_T3_PKS2_S4_PKS1_PKT2_21rocsparse_index_base_S4_S4_S6_S4_S4_S6_S4_PS7_PNS_15floating_traitsIS7_E6data_tEPKSE_.num_agpr, 0
	.set _ZN9rocsparseL16kernel_calculateILi1024ELi32ELb1EfiiEEvT4_T3_PKS2_S4_PKS1_PKT2_21rocsparse_index_base_S4_S4_S6_S4_S4_S6_S4_PS7_PNS_15floating_traitsIS7_E6data_tEPKSE_.numbered_sgpr, 56
	.set _ZN9rocsparseL16kernel_calculateILi1024ELi32ELb1EfiiEEvT4_T3_PKS2_S4_PKS1_PKT2_21rocsparse_index_base_S4_S4_S6_S4_S4_S6_S4_PS7_PNS_15floating_traitsIS7_E6data_tEPKSE_.num_named_barrier, 0
	.set _ZN9rocsparseL16kernel_calculateILi1024ELi32ELb1EfiiEEvT4_T3_PKS2_S4_PKS1_PKT2_21rocsparse_index_base_S4_S4_S6_S4_S4_S6_S4_PS7_PNS_15floating_traitsIS7_E6data_tEPKSE_.private_seg_size, 0
	.set _ZN9rocsparseL16kernel_calculateILi1024ELi32ELb1EfiiEEvT4_T3_PKS2_S4_PKS1_PKT2_21rocsparse_index_base_S4_S4_S6_S4_S4_S6_S4_PS7_PNS_15floating_traitsIS7_E6data_tEPKSE_.uses_vcc, 1
	.set _ZN9rocsparseL16kernel_calculateILi1024ELi32ELb1EfiiEEvT4_T3_PKS2_S4_PKS1_PKT2_21rocsparse_index_base_S4_S4_S6_S4_S4_S6_S4_PS7_PNS_15floating_traitsIS7_E6data_tEPKSE_.uses_flat_scratch, 0
	.set _ZN9rocsparseL16kernel_calculateILi1024ELi32ELb1EfiiEEvT4_T3_PKS2_S4_PKS1_PKT2_21rocsparse_index_base_S4_S4_S6_S4_S4_S6_S4_PS7_PNS_15floating_traitsIS7_E6data_tEPKSE_.has_dyn_sized_stack, 0
	.set _ZN9rocsparseL16kernel_calculateILi1024ELi32ELb1EfiiEEvT4_T3_PKS2_S4_PKS1_PKT2_21rocsparse_index_base_S4_S4_S6_S4_S4_S6_S4_PS7_PNS_15floating_traitsIS7_E6data_tEPKSE_.has_recursion, 0
	.set _ZN9rocsparseL16kernel_calculateILi1024ELi32ELb1EfiiEEvT4_T3_PKS2_S4_PKS1_PKT2_21rocsparse_index_base_S4_S4_S6_S4_S4_S6_S4_PS7_PNS_15floating_traitsIS7_E6data_tEPKSE_.has_indirect_call, 0
	.section	.AMDGPU.csdata,"",@progbits
; Kernel info:
; codeLenInByte = 1948
; TotalNumSgprs: 62
; NumVgprs: 30
; NumAgprs: 0
; TotalNumVgprs: 30
; ScratchSize: 0
; MemoryBound: 0
; FloatMode: 240
; IeeeMode: 1
; LDSByteSize: 128 bytes/workgroup (compile time only)
; SGPRBlocks: 7
; VGPRBlocks: 3
; NumSGPRsForWavesPerEU: 62
; NumVGPRsForWavesPerEU: 30
; AccumOffset: 32
; Occupancy: 8
; WaveLimiterHint : 1
; COMPUTE_PGM_RSRC2:SCRATCH_EN: 0
; COMPUTE_PGM_RSRC2:USER_SGPR: 2
; COMPUTE_PGM_RSRC2:TRAP_HANDLER: 0
; COMPUTE_PGM_RSRC2:TGID_X_EN: 1
; COMPUTE_PGM_RSRC2:TGID_Y_EN: 0
; COMPUTE_PGM_RSRC2:TGID_Z_EN: 0
; COMPUTE_PGM_RSRC2:TIDIG_COMP_CNT: 0
; COMPUTE_PGM_RSRC3_GFX90A:ACCUM_OFFSET: 7
; COMPUTE_PGM_RSRC3_GFX90A:TG_SPLIT: 0
	.section	.text._ZN9rocsparseL16kernel_calculateILi1024ELi64ELb1EfiiEEvT4_T3_PKS2_S4_PKS1_PKT2_21rocsparse_index_base_S4_S4_S6_S4_S4_S6_S4_PS7_PNS_15floating_traitsIS7_E6data_tEPKSE_,"axG",@progbits,_ZN9rocsparseL16kernel_calculateILi1024ELi64ELb1EfiiEEvT4_T3_PKS2_S4_PKS1_PKT2_21rocsparse_index_base_S4_S4_S6_S4_S4_S6_S4_PS7_PNS_15floating_traitsIS7_E6data_tEPKSE_,comdat
	.globl	_ZN9rocsparseL16kernel_calculateILi1024ELi64ELb1EfiiEEvT4_T3_PKS2_S4_PKS1_PKT2_21rocsparse_index_base_S4_S4_S6_S4_S4_S6_S4_PS7_PNS_15floating_traitsIS7_E6data_tEPKSE_ ; -- Begin function _ZN9rocsparseL16kernel_calculateILi1024ELi64ELb1EfiiEEvT4_T3_PKS2_S4_PKS1_PKT2_21rocsparse_index_base_S4_S4_S6_S4_S4_S6_S4_PS7_PNS_15floating_traitsIS7_E6data_tEPKSE_
	.p2align	8
	.type	_ZN9rocsparseL16kernel_calculateILi1024ELi64ELb1EfiiEEvT4_T3_PKS2_S4_PKS1_PKT2_21rocsparse_index_base_S4_S4_S6_S4_S4_S6_S4_PS7_PNS_15floating_traitsIS7_E6data_tEPKSE_,@function
_ZN9rocsparseL16kernel_calculateILi1024ELi64ELb1EfiiEEvT4_T3_PKS2_S4_PKS1_PKT2_21rocsparse_index_base_S4_S4_S6_S4_S4_S6_S4_PS7_PNS_15floating_traitsIS7_E6data_tEPKSE_: ; @_ZN9rocsparseL16kernel_calculateILi1024ELi64ELb1EfiiEEvT4_T3_PKS2_S4_PKS1_PKT2_21rocsparse_index_base_S4_S4_S6_S4_S4_S6_S4_PS7_PNS_15floating_traitsIS7_E6data_tEPKSE_
; %bb.0:
	s_load_dword s33, s[0:1], 0x0
	v_lshrrev_b32_e32 v1, 6, v0
	v_lshl_or_b32 v17, s2, 10, v1
	v_and_b32_e32 v16, 63, v0
	v_mov_b32_e32 v18, 0
	s_waitcnt lgkmcnt(0)
	v_cmp_gt_i32_e32 vcc, s33, v17
	s_and_saveexec_b64 s[6:7], vcc
	s_cbranch_execz .LBB8_33
; %bb.1:
	s_load_dword s50, s[0:1], 0x28
	s_load_dwordx8 s[8:15], s[0:1], 0x50
	s_load_dwordx8 s[16:23], s[0:1], 0x30
	;; [unrolled: 1-line block ×3, first 2 shown]
	v_mov_b32_e32 v18, 0
	s_waitcnt lgkmcnt(0)
	v_subrev_u32_e32 v19, s50, v16
	s_mov_b32 s51, 0
	s_movk_i32 s52, 0x1f8
	s_mov_b32 s53, 0x7f800000
	s_branch .LBB8_5
.LBB8_2:                                ;   in Loop: Header=BB8_5 Depth=1
	s_or_b64 exec, exec, s[38:39]
.LBB8_3:                                ;   in Loop: Header=BB8_5 Depth=1
	s_or_b64 exec, exec, s[36:37]
.LBB8_4:                                ;   in Loop: Header=BB8_5 Depth=1
	s_or_b64 exec, exec, s[34:35]
	s_add_i32 s51, s51, 1
	s_cmp_lg_u32 s51, 64
	s_cbranch_scc0 .LBB8_33
.LBB8_5:                                ; =>This Loop Header: Depth=1
                                        ;     Child Loop BB8_9 Depth 2
                                        ;       Child Loop BB8_12 Depth 3
                                        ;       Child Loop BB8_18 Depth 3
	;; [unrolled: 1-line block ×3, first 2 shown]
	v_lshl_add_u32 v2, s51, 4, v17
	v_cmp_gt_i32_e32 vcc, s33, v2
	s_and_saveexec_b64 s[34:35], vcc
	s_cbranch_execz .LBB8_4
; %bb.6:                                ;   in Loop: Header=BB8_5 Depth=1
	v_ashrrev_i32_e32 v3, 31, v2
	v_lshlrev_b64 v[6:7], 2, v[2:3]
	v_lshl_add_u64 v[4:5], s[26:27], 0, v[6:7]
	global_load_dword v3, v[4:5], off
	v_lshl_add_u64 v[4:5], s[24:25], 0, v[6:7]
	global_load_dword v4, v[4:5], off
	s_waitcnt vmcnt(1)
	v_subrev_u32_e32 v3, s50, v3
	s_waitcnt vmcnt(0)
	v_add_u32_e32 v4, v19, v4
	v_cmp_lt_i32_e32 vcc, v4, v3
	s_and_saveexec_b64 s[36:37], vcc
	s_cbranch_execz .LBB8_3
; %bb.7:                                ;   in Loop: Header=BB8_5 Depth=1
	v_lshl_add_u64 v[8:9], s[18:19], 0, v[6:7]
	v_lshl_add_u64 v[6:7], s[16:17], 0, v[6:7]
	global_load_dword v5, v[8:9], off
	s_mov_b64 s[38:39], 0
	global_load_dword v6, v[6:7], off
	s_waitcnt vmcnt(1)
	v_subrev_u32_e32 v20, s50, v5
	s_waitcnt vmcnt(0)
	v_subrev_u32_e32 v21, s50, v6
	v_cmp_lt_i32_e64 s[2:3], v6, v5
	s_branch .LBB8_9
.LBB8_8:                                ;   in Loop: Header=BB8_9 Depth=2
	s_or_b64 exec, exec, s[4:5]
	v_add_f32_e32 v5, v7, v25
	v_cmp_eq_u32_e32 vcc, v2, v6
	v_add_u32_e32 v4, 64, v4
	s_nop 0
	v_cndmask_b32_e32 v5, v25, v5, vcc
	v_cmp_nlg_f32_e64 s[4:5], |v5|, s53
	v_cmp_gt_f32_e64 s[40:41], v18, |v5|
	s_or_b64 s[4:5], s[4:5], s[40:41]
	v_cmp_ge_i32_e32 vcc, v4, v3
	s_or_b64 s[38:39], vcc, s[38:39]
	v_cndmask_b32_e64 v18, |v5|, v18, s[4:5]
	s_andn2_b64 exec, exec, s[38:39]
	s_cbranch_execz .LBB8_2
.LBB8_9:                                ;   Parent Loop BB8_5 Depth=1
                                        ; =>  This Loop Header: Depth=2
                                        ;       Child Loop BB8_12 Depth 3
                                        ;       Child Loop BB8_18 Depth 3
	;; [unrolled: 1-line block ×3, first 2 shown]
	v_ashrrev_i32_e32 v5, 31, v4
	v_lshlrev_b64 v[8:9], 2, v[4:5]
	v_lshl_add_u64 v[6:7], s[28:29], 0, v[8:9]
	global_load_dword v23, v[6:7], off
	v_lshl_add_u64 v[8:9], s[30:31], 0, v[8:9]
	v_mov_b32_e32 v24, 0
	s_waitcnt vmcnt(0)
	v_subrev_u32_e32 v6, s50, v23
	v_ashrrev_i32_e32 v7, 31, v6
	v_lshlrev_b64 v[10:11], 2, v[6:7]
	v_lshl_add_u64 v[12:13], s[18:19], 0, v[10:11]
	global_load_dword v7, v[12:13], off
	v_lshl_add_u64 v[12:13], s[8:9], 0, v[10:11]
	v_lshl_add_u64 v[10:11], s[22:23], 0, v[10:11]
	global_load_dword v12, v[12:13], off
	s_nop 0
	global_load_dword v13, v[10:11], off
	global_load_dword v22, v[8:9], off
	s_waitcnt vmcnt(3)
	v_subrev_u32_e32 v8, s50, v7
	v_ashrrev_i32_e32 v9, 31, v8
	v_lshl_add_u64 v[8:9], v[8:9], 2, s[14:15]
	global_load_dword v7, v[8:9], off
	s_waitcnt vmcnt(2)
	v_cmp_lt_i32_e32 vcc, v13, v12
	v_subrev_u32_e32 v26, s50, v12
	v_subrev_u32_e32 v10, s50, v13
	s_and_b64 s[4:5], s[2:3], vcc
	v_mov_b32_e32 v8, v21
	s_and_saveexec_b64 s[40:41], s[4:5]
	s_cbranch_execz .LBB8_15
; %bb.10:                               ;   in Loop: Header=BB8_9 Depth=2
	v_mov_b32_e32 v24, 0
	s_mov_b64 s[42:43], 0
	v_mov_b32_e32 v8, v21
	s_branch .LBB8_12
.LBB8_11:                               ;   in Loop: Header=BB8_12 Depth=3
	s_or_b64 exec, exec, s[4:5]
	v_cmp_le_i32_e32 vcc, v12, v13
	s_nop 1
	v_addc_co_u32_e32 v8, vcc, 0, v8, vcc
	v_cmp_ge_i32_e32 vcc, v12, v13
	s_nop 1
	v_addc_co_u32_e32 v10, vcc, 0, v10, vcc
	v_cmp_ge_i32_e32 vcc, v8, v20
	v_cmp_ge_i32_e64 s[4:5], v10, v26
	s_or_b64 s[4:5], vcc, s[4:5]
	s_and_b64 s[4:5], exec, s[4:5]
	s_or_b64 s[42:43], s[4:5], s[42:43]
	s_andn2_b64 exec, exec, s[42:43]
	s_cbranch_execz .LBB8_14
.LBB8_12:                               ;   Parent Loop BB8_5 Depth=1
                                        ;     Parent Loop BB8_9 Depth=2
                                        ; =>    This Inner Loop Header: Depth=3
	v_ashrrev_i32_e32 v9, 31, v8
	v_ashrrev_i32_e32 v11, 31, v10
	v_lshl_add_u64 v[12:13], v[8:9], 2, s[20:21]
	v_lshl_add_u64 v[14:15], v[10:11], 2, s[10:11]
	global_load_dword v12, v[12:13], off
	s_nop 0
	global_load_dword v13, v[14:15], off
	s_waitcnt vmcnt(0)
	v_cmp_eq_u32_e32 vcc, v12, v13
	s_and_saveexec_b64 s[4:5], vcc
	s_cbranch_execz .LBB8_11
; %bb.13:                               ;   in Loop: Header=BB8_12 Depth=3
	v_lshl_add_u64 v[14:15], v[10:11], 2, s[12:13]
	global_load_dword v14, v[14:15], off
	v_lshl_add_u64 v[28:29], v[8:9], 2, s[14:15]
	global_load_dword v9, v[28:29], off
	s_waitcnt vmcnt(1)
	v_ashrrev_i32_e32 v15, 31, v14
	v_lshl_add_u64 v[14:15], v[14:15], 2, s[14:15]
	global_load_dword v11, v[14:15], off
	s_waitcnt vmcnt(0)
	v_fmac_f32_e32 v24, v9, v11
	s_branch .LBB8_11
.LBB8_14:                               ;   in Loop: Header=BB8_9 Depth=2
	s_or_b64 exec, exec, s[42:43]
.LBB8_15:                               ;   in Loop: Header=BB8_9 Depth=2
	s_or_b64 exec, exec, s[40:41]
	s_waitcnt vmcnt(1)
	v_sub_f32_e32 v25, v24, v22
	v_cmp_lt_i32_e32 vcc, v10, v26
	s_and_saveexec_b64 s[4:5], vcc
	s_cbranch_execz .LBB8_23
; %bb.16:                               ;   in Loop: Header=BB8_9 Depth=2
	v_ashrrev_i32_e32 v11, 31, v10
	v_lshl_add_u64 v[12:13], v[10:11], 2, s[10:11]
	s_mov_b64 s[40:41], 0
                                        ; implicit-def: $sgpr42_sgpr43
                                        ; implicit-def: $sgpr46_sgpr47
                                        ; implicit-def: $sgpr44_sgpr45
	s_branch .LBB8_18
.LBB8_17:                               ;   in Loop: Header=BB8_18 Depth=3
	s_or_b64 exec, exec, s[48:49]
	s_and_b64 s[48:49], exec, s[46:47]
	s_or_b64 s[40:41], s[48:49], s[40:41]
	s_andn2_b64 s[42:43], s[42:43], exec
	s_and_b64 s[48:49], s[44:45], exec
	s_or_b64 s[42:43], s[42:43], s[48:49]
	s_andn2_b64 exec, exec, s[40:41]
	s_cbranch_execz .LBB8_20
.LBB8_18:                               ;   Parent Loop BB8_5 Depth=1
                                        ;     Parent Loop BB8_9 Depth=2
                                        ; =>    This Inner Loop Header: Depth=3
	global_load_dword v9, v[12:13], off
	v_mov_b64_e32 v[14:15], v[10:11]
	s_or_b64 s[44:45], s[44:45], exec
	s_or_b64 s[46:47], s[46:47], exec
                                        ; implicit-def: $vgpr10_vgpr11
	s_waitcnt vmcnt(0)
	v_subrev_u32_e32 v9, s50, v9
	v_cmp_ne_u32_e32 vcc, v9, v2
	s_and_saveexec_b64 s[48:49], vcc
	s_cbranch_execz .LBB8_17
; %bb.19:                               ;   in Loop: Header=BB8_18 Depth=3
	v_lshl_add_u64 v[10:11], v[14:15], 0, 1
	v_cmp_ge_i32_e32 vcc, v10, v26
	s_andn2_b64 s[46:47], s[46:47], exec
	s_and_b64 s[54:55], vcc, exec
	v_lshl_add_u64 v[12:13], v[12:13], 0, 4
	s_andn2_b64 s[44:45], s[44:45], exec
	s_or_b64 s[46:47], s[46:47], s[54:55]
	s_branch .LBB8_17
.LBB8_20:                               ;   in Loop: Header=BB8_9 Depth=2
	s_or_b64 exec, exec, s[40:41]
	s_and_saveexec_b64 s[40:41], s[42:43]
	s_xor_b64 s[40:41], exec, s[40:41]
	s_cbranch_execz .LBB8_22
; %bb.21:                               ;   in Loop: Header=BB8_9 Depth=2
	v_lshl_add_u64 v[10:11], v[14:15], 2, s[12:13]
	global_load_dword v10, v[10:11], off
	s_waitcnt vmcnt(0)
	v_ashrrev_i32_e32 v11, 31, v10
	v_lshl_add_u64 v[10:11], v[10:11], 2, s[14:15]
	global_load_dword v9, v[10:11], off
	s_waitcnt vmcnt(0)
	v_add_f32_e32 v25, v25, v9
.LBB8_22:                               ;   in Loop: Header=BB8_9 Depth=2
	s_or_b64 exec, exec, s[40:41]
.LBB8_23:                               ;   in Loop: Header=BB8_9 Depth=2
	s_or_b64 exec, exec, s[4:5]
	v_cmp_lt_i32_e32 vcc, v8, v20
	s_and_saveexec_b64 s[4:5], vcc
	s_cbranch_execz .LBB8_31
; %bb.24:                               ;   in Loop: Header=BB8_9 Depth=2
	v_ashrrev_i32_e32 v9, 31, v8
	v_lshl_add_u64 v[10:11], v[8:9], 2, s[20:21]
	s_mov_b64 s[40:41], 0
                                        ; implicit-def: $sgpr42_sgpr43
                                        ; implicit-def: $sgpr46_sgpr47
                                        ; implicit-def: $sgpr44_sgpr45
	s_branch .LBB8_26
.LBB8_25:                               ;   in Loop: Header=BB8_26 Depth=3
	s_or_b64 exec, exec, s[48:49]
	s_and_b64 s[48:49], exec, s[46:47]
	s_or_b64 s[40:41], s[48:49], s[40:41]
	s_andn2_b64 s[42:43], s[42:43], exec
	s_and_b64 s[48:49], s[44:45], exec
	s_or_b64 s[42:43], s[42:43], s[48:49]
	s_andn2_b64 exec, exec, s[40:41]
	s_cbranch_execz .LBB8_28
.LBB8_26:                               ;   Parent Loop BB8_5 Depth=1
                                        ;     Parent Loop BB8_9 Depth=2
                                        ; =>    This Inner Loop Header: Depth=3
	global_load_dword v14, v[10:11], off
	v_mov_b64_e32 v[12:13], v[8:9]
	s_or_b64 s[44:45], s[44:45], exec
	s_or_b64 s[46:47], s[46:47], exec
                                        ; implicit-def: $vgpr8_vgpr9
	s_waitcnt vmcnt(0)
	v_cmp_ne_u32_e32 vcc, v14, v23
	s_and_saveexec_b64 s[48:49], vcc
	s_cbranch_execz .LBB8_25
; %bb.27:                               ;   in Loop: Header=BB8_26 Depth=3
	v_lshl_add_u64 v[8:9], v[12:13], 0, 1
	v_cmp_ge_i32_e32 vcc, v8, v20
	s_andn2_b64 s[46:47], s[46:47], exec
	s_and_b64 s[54:55], vcc, exec
	v_lshl_add_u64 v[10:11], v[10:11], 0, 4
	s_andn2_b64 s[44:45], s[44:45], exec
	s_or_b64 s[46:47], s[46:47], s[54:55]
	s_branch .LBB8_25
.LBB8_28:                               ;   in Loop: Header=BB8_9 Depth=2
	s_or_b64 exec, exec, s[40:41]
	s_and_saveexec_b64 s[40:41], s[42:43]
	s_xor_b64 s[40:41], exec, s[40:41]
	s_cbranch_execz .LBB8_30
; %bb.29:                               ;   in Loop: Header=BB8_9 Depth=2
	v_lshl_add_u64 v[8:9], v[12:13], 2, s[14:15]
	global_load_dword v8, v[8:9], off
	s_waitcnt vmcnt(0)
	v_fmac_f32_e32 v25, v8, v7
.LBB8_30:                               ;   in Loop: Header=BB8_9 Depth=2
	s_or_b64 exec, exec, s[40:41]
.LBB8_31:                               ;   in Loop: Header=BB8_9 Depth=2
	s_or_b64 exec, exec, s[4:5]
	v_sub_f32_e32 v8, v22, v24
	s_waitcnt vmcnt(0)
	v_div_scale_f32 v9, s[4:5], v7, v7, v8
	v_rcp_f32_e32 v10, v9
	v_div_scale_f32 v11, vcc, v8, v7, v8
	v_fma_f32 v12, -v9, v10, 1.0
	v_fmac_f32_e32 v10, v12, v10
	v_mul_f32_e32 v12, v11, v10
	v_fma_f32 v13, -v9, v12, v11
	v_fmac_f32_e32 v12, v13, v10
	v_fma_f32 v9, -v9, v12, v11
	v_div_fmas_f32 v9, v9, v10, v12
	v_div_fixup_f32 v9, v9, v7, v8
	v_cmp_gt_i32_e32 vcc, v2, v6
	s_nop 1
	v_cndmask_b32_e32 v8, v8, v9, vcc
	v_cmp_class_f32_e64 s[40:41], v8, s52
	s_and_saveexec_b64 s[4:5], s[40:41]
	s_cbranch_execz .LBB8_8
; %bb.32:                               ;   in Loop: Header=BB8_9 Depth=2
	v_lshl_add_u64 v[10:11], v[4:5], 2, s[14:15]
	global_store_dword v[10:11], v8, off
	s_branch .LBB8_8
.LBB8_33:
	s_or_b64 exec, exec, s[6:7]
	v_mov_b32_dpp v2, v18 row_shr:1 row_mask:0xf bank_mask:0xf
	v_cmp_lt_f32_e32 vcc, v18, v2
	s_nop 1
	v_cndmask_b32_e32 v2, v18, v2, vcc
	s_nop 1
	v_mov_b32_dpp v3, v2 row_shr:2 row_mask:0xf bank_mask:0xf
	v_cmp_lt_f32_e32 vcc, v2, v3
	s_nop 1
	v_cndmask_b32_e32 v2, v2, v3, vcc
	s_nop 1
	;; [unrolled: 5-line block ×4, first 2 shown]
	v_mov_b32_dpp v3, v2 row_bcast:15 row_mask:0xa bank_mask:0xf
	v_cmp_lt_f32_e32 vcc, v2, v3
	s_nop 1
	v_cndmask_b32_e32 v2, v2, v3, vcc
	v_cmp_eq_u32_e32 vcc, 63, v16
	s_nop 0
	v_mov_b32_dpp v3, v2 row_bcast:31 row_mask:0xc bank_mask:0xf
	s_and_saveexec_b64 s[2:3], vcc
; %bb.34:
	v_cmp_lt_f32_e32 vcc, v2, v3
	v_lshlrev_b32_e32 v1, 2, v1
	s_nop 0
	v_cndmask_b32_e32 v2, v2, v3, vcc
	ds_write_b32 v1, v2
; %bb.35:
	s_or_b64 exec, exec, s[2:3]
	v_cmp_gt_u32_e32 vcc, 8, v0
	v_lshlrev_b32_e32 v1, 2, v0
	s_waitcnt lgkmcnt(0)
	s_barrier
	s_and_saveexec_b64 s[2:3], vcc
	s_cbranch_execz .LBB8_37
; %bb.36:
	ds_read2_b32 v[2:3], v1 offset1:8
	s_waitcnt lgkmcnt(0)
	v_cmp_lt_f32_e32 vcc, v2, v3
	s_nop 1
	v_cndmask_b32_e32 v2, v2, v3, vcc
	ds_write_b32 v1, v2
.LBB8_37:
	s_or_b64 exec, exec, s[2:3]
	v_cmp_gt_u32_e32 vcc, 4, v0
	s_waitcnt lgkmcnt(0)
	s_barrier
	s_and_saveexec_b64 s[2:3], vcc
	s_cbranch_execz .LBB8_39
; %bb.38:
	ds_read2_b32 v[2:3], v1 offset1:4
	s_waitcnt lgkmcnt(0)
	v_cmp_lt_f32_e32 vcc, v2, v3
	s_nop 1
	v_cndmask_b32_e32 v2, v2, v3, vcc
	ds_write_b32 v1, v2
.LBB8_39:
	s_or_b64 exec, exec, s[2:3]
	v_cmp_gt_u32_e32 vcc, 2, v0
	s_waitcnt lgkmcnt(0)
	s_barrier
	s_and_saveexec_b64 s[2:3], vcc
	s_cbranch_execz .LBB8_41
; %bb.40:
	ds_read2_b32 v[2:3], v1 offset1:2
	s_waitcnt lgkmcnt(0)
	v_cmp_lt_f32_e32 vcc, v2, v3
	s_nop 1
	v_cndmask_b32_e32 v2, v2, v3, vcc
	ds_write_b32 v1, v2
.LBB8_41:
	s_or_b64 exec, exec, s[2:3]
	v_cmp_eq_u32_e32 vcc, 0, v0
	s_waitcnt lgkmcnt(0)
	s_barrier
	s_and_saveexec_b64 s[4:5], vcc
	s_cbranch_execz .LBB8_43
; %bb.42:
	v_mov_b32_e32 v2, 0
	ds_read_b64 v[0:1], v2
	s_waitcnt lgkmcnt(0)
	v_cmp_lt_f32_e64 s[2:3], v0, v1
	s_nop 1
	v_cndmask_b32_e64 v0, v0, v1, s[2:3]
	ds_write_b32 v2, v0
.LBB8_43:
	s_or_b64 exec, exec, s[4:5]
	s_waitcnt lgkmcnt(0)
	s_barrier
	s_and_saveexec_b64 s[2:3], vcc
	s_cbranch_execz .LBB8_47
; %bb.44:
	v_mbcnt_lo_u32_b32 v0, exec_lo, 0
	v_mbcnt_hi_u32_b32 v0, exec_hi, v0
	v_cmp_eq_u32_e32 vcc, 0, v0
	s_and_b64 exec, exec, vcc
	s_cbranch_execz .LBB8_47
; %bb.45:
	s_load_dwordx4 s[0:3], s[0:1], 0x70
	v_mov_b32_e32 v2, 0
	ds_read_b32 v0, v2
	s_waitcnt lgkmcnt(0)
	s_load_dword s6, s[2:3], 0x0
	s_mov_b64 s[2:3], 0
	s_waitcnt lgkmcnt(0)
	v_div_scale_f32 v1, s[4:5], s6, s6, v0
	v_rcp_f32_e32 v3, v1
	v_div_scale_f32 v4, vcc, v0, s6, v0
	s_load_dword s4, s[0:1], 0x0
	v_fma_f32 v5, -v1, v3, 1.0
	v_fmac_f32_e32 v3, v5, v3
	v_mul_f32_e32 v5, v4, v3
	v_fma_f32 v6, -v1, v5, v4
	v_fmac_f32_e32 v5, v6, v3
	v_fma_f32 v1, -v1, v5, v4
	v_div_fmas_f32 v1, v1, v3, v5
	v_div_fixup_f32 v0, v1, s6, v0
	s_waitcnt lgkmcnt(0)
	v_mov_b32_e32 v1, s4
	v_max_f32_e32 v3, v0, v0
.LBB8_46:                               ; =>This Inner Loop Header: Depth=1
	v_max_f32_e32 v0, v1, v1
	v_max_f32_e32 v0, v0, v3
	global_atomic_cmpswap v0, v2, v[0:1], s[0:1] sc0
	s_waitcnt vmcnt(0)
	v_cmp_eq_u32_e32 vcc, v0, v1
	s_or_b64 s[2:3], vcc, s[2:3]
	v_mov_b32_e32 v1, v0
	s_andn2_b64 exec, exec, s[2:3]
	s_cbranch_execnz .LBB8_46
.LBB8_47:
	s_endpgm
	.section	.rodata,"a",@progbits
	.p2align	6, 0x0
	.amdhsa_kernel _ZN9rocsparseL16kernel_calculateILi1024ELi64ELb1EfiiEEvT4_T3_PKS2_S4_PKS1_PKT2_21rocsparse_index_base_S4_S4_S6_S4_S4_S6_S4_PS7_PNS_15floating_traitsIS7_E6data_tEPKSE_
		.amdhsa_group_segment_fixed_size 64
		.amdhsa_private_segment_fixed_size 0
		.amdhsa_kernarg_size 128
		.amdhsa_user_sgpr_count 2
		.amdhsa_user_sgpr_dispatch_ptr 0
		.amdhsa_user_sgpr_queue_ptr 0
		.amdhsa_user_sgpr_kernarg_segment_ptr 1
		.amdhsa_user_sgpr_dispatch_id 0
		.amdhsa_user_sgpr_kernarg_preload_length 0
		.amdhsa_user_sgpr_kernarg_preload_offset 0
		.amdhsa_user_sgpr_private_segment_size 0
		.amdhsa_uses_dynamic_stack 0
		.amdhsa_enable_private_segment 0
		.amdhsa_system_sgpr_workgroup_id_x 1
		.amdhsa_system_sgpr_workgroup_id_y 0
		.amdhsa_system_sgpr_workgroup_id_z 0
		.amdhsa_system_sgpr_workgroup_info 0
		.amdhsa_system_vgpr_workitem_id 0
		.amdhsa_next_free_vgpr 30
		.amdhsa_next_free_sgpr 56
		.amdhsa_accum_offset 32
		.amdhsa_reserve_vcc 1
		.amdhsa_float_round_mode_32 0
		.amdhsa_float_round_mode_16_64 0
		.amdhsa_float_denorm_mode_32 3
		.amdhsa_float_denorm_mode_16_64 3
		.amdhsa_dx10_clamp 1
		.amdhsa_ieee_mode 1
		.amdhsa_fp16_overflow 0
		.amdhsa_tg_split 0
		.amdhsa_exception_fp_ieee_invalid_op 0
		.amdhsa_exception_fp_denorm_src 0
		.amdhsa_exception_fp_ieee_div_zero 0
		.amdhsa_exception_fp_ieee_overflow 0
		.amdhsa_exception_fp_ieee_underflow 0
		.amdhsa_exception_fp_ieee_inexact 0
		.amdhsa_exception_int_div_zero 0
	.end_amdhsa_kernel
	.section	.text._ZN9rocsparseL16kernel_calculateILi1024ELi64ELb1EfiiEEvT4_T3_PKS2_S4_PKS1_PKT2_21rocsparse_index_base_S4_S4_S6_S4_S4_S6_S4_PS7_PNS_15floating_traitsIS7_E6data_tEPKSE_,"axG",@progbits,_ZN9rocsparseL16kernel_calculateILi1024ELi64ELb1EfiiEEvT4_T3_PKS2_S4_PKS1_PKT2_21rocsparse_index_base_S4_S4_S6_S4_S4_S6_S4_PS7_PNS_15floating_traitsIS7_E6data_tEPKSE_,comdat
.Lfunc_end8:
	.size	_ZN9rocsparseL16kernel_calculateILi1024ELi64ELb1EfiiEEvT4_T3_PKS2_S4_PKS1_PKT2_21rocsparse_index_base_S4_S4_S6_S4_S4_S6_S4_PS7_PNS_15floating_traitsIS7_E6data_tEPKSE_, .Lfunc_end8-_ZN9rocsparseL16kernel_calculateILi1024ELi64ELb1EfiiEEvT4_T3_PKS2_S4_PKS1_PKT2_21rocsparse_index_base_S4_S4_S6_S4_S4_S6_S4_PS7_PNS_15floating_traitsIS7_E6data_tEPKSE_
                                        ; -- End function
	.set _ZN9rocsparseL16kernel_calculateILi1024ELi64ELb1EfiiEEvT4_T3_PKS2_S4_PKS1_PKT2_21rocsparse_index_base_S4_S4_S6_S4_S4_S6_S4_PS7_PNS_15floating_traitsIS7_E6data_tEPKSE_.num_vgpr, 30
	.set _ZN9rocsparseL16kernel_calculateILi1024ELi64ELb1EfiiEEvT4_T3_PKS2_S4_PKS1_PKT2_21rocsparse_index_base_S4_S4_S6_S4_S4_S6_S4_PS7_PNS_15floating_traitsIS7_E6data_tEPKSE_.num_agpr, 0
	.set _ZN9rocsparseL16kernel_calculateILi1024ELi64ELb1EfiiEEvT4_T3_PKS2_S4_PKS1_PKT2_21rocsparse_index_base_S4_S4_S6_S4_S4_S6_S4_PS7_PNS_15floating_traitsIS7_E6data_tEPKSE_.numbered_sgpr, 56
	.set _ZN9rocsparseL16kernel_calculateILi1024ELi64ELb1EfiiEEvT4_T3_PKS2_S4_PKS1_PKT2_21rocsparse_index_base_S4_S4_S6_S4_S4_S6_S4_PS7_PNS_15floating_traitsIS7_E6data_tEPKSE_.num_named_barrier, 0
	.set _ZN9rocsparseL16kernel_calculateILi1024ELi64ELb1EfiiEEvT4_T3_PKS2_S4_PKS1_PKT2_21rocsparse_index_base_S4_S4_S6_S4_S4_S6_S4_PS7_PNS_15floating_traitsIS7_E6data_tEPKSE_.private_seg_size, 0
	.set _ZN9rocsparseL16kernel_calculateILi1024ELi64ELb1EfiiEEvT4_T3_PKS2_S4_PKS1_PKT2_21rocsparse_index_base_S4_S4_S6_S4_S4_S6_S4_PS7_PNS_15floating_traitsIS7_E6data_tEPKSE_.uses_vcc, 1
	.set _ZN9rocsparseL16kernel_calculateILi1024ELi64ELb1EfiiEEvT4_T3_PKS2_S4_PKS1_PKT2_21rocsparse_index_base_S4_S4_S6_S4_S4_S6_S4_PS7_PNS_15floating_traitsIS7_E6data_tEPKSE_.uses_flat_scratch, 0
	.set _ZN9rocsparseL16kernel_calculateILi1024ELi64ELb1EfiiEEvT4_T3_PKS2_S4_PKS1_PKT2_21rocsparse_index_base_S4_S4_S6_S4_S4_S6_S4_PS7_PNS_15floating_traitsIS7_E6data_tEPKSE_.has_dyn_sized_stack, 0
	.set _ZN9rocsparseL16kernel_calculateILi1024ELi64ELb1EfiiEEvT4_T3_PKS2_S4_PKS1_PKT2_21rocsparse_index_base_S4_S4_S6_S4_S4_S6_S4_PS7_PNS_15floating_traitsIS7_E6data_tEPKSE_.has_recursion, 0
	.set _ZN9rocsparseL16kernel_calculateILi1024ELi64ELb1EfiiEEvT4_T3_PKS2_S4_PKS1_PKT2_21rocsparse_index_base_S4_S4_S6_S4_S4_S6_S4_PS7_PNS_15floating_traitsIS7_E6data_tEPKSE_.has_indirect_call, 0
	.section	.AMDGPU.csdata,"",@progbits
; Kernel info:
; codeLenInByte = 1916
; TotalNumSgprs: 62
; NumVgprs: 30
; NumAgprs: 0
; TotalNumVgprs: 30
; ScratchSize: 0
; MemoryBound: 0
; FloatMode: 240
; IeeeMode: 1
; LDSByteSize: 64 bytes/workgroup (compile time only)
; SGPRBlocks: 7
; VGPRBlocks: 3
; NumSGPRsForWavesPerEU: 62
; NumVGPRsForWavesPerEU: 30
; AccumOffset: 32
; Occupancy: 8
; WaveLimiterHint : 1
; COMPUTE_PGM_RSRC2:SCRATCH_EN: 0
; COMPUTE_PGM_RSRC2:USER_SGPR: 2
; COMPUTE_PGM_RSRC2:TRAP_HANDLER: 0
; COMPUTE_PGM_RSRC2:TGID_X_EN: 1
; COMPUTE_PGM_RSRC2:TGID_Y_EN: 0
; COMPUTE_PGM_RSRC2:TGID_Z_EN: 0
; COMPUTE_PGM_RSRC2:TIDIG_COMP_CNT: 0
; COMPUTE_PGM_RSRC3_GFX90A:ACCUM_OFFSET: 7
; COMPUTE_PGM_RSRC3_GFX90A:TG_SPLIT: 0
	.section	.text._ZN9rocsparseL16kernel_calculateILi1024ELi1ELb0EfiiEEvT4_T3_PKS2_S4_PKS1_PKT2_21rocsparse_index_base_S4_S4_S6_S4_S4_S6_S4_PS7_PNS_15floating_traitsIS7_E6data_tEPKSE_,"axG",@progbits,_ZN9rocsparseL16kernel_calculateILi1024ELi1ELb0EfiiEEvT4_T3_PKS2_S4_PKS1_PKT2_21rocsparse_index_base_S4_S4_S6_S4_S4_S6_S4_PS7_PNS_15floating_traitsIS7_E6data_tEPKSE_,comdat
	.globl	_ZN9rocsparseL16kernel_calculateILi1024ELi1ELb0EfiiEEvT4_T3_PKS2_S4_PKS1_PKT2_21rocsparse_index_base_S4_S4_S6_S4_S4_S6_S4_PS7_PNS_15floating_traitsIS7_E6data_tEPKSE_ ; -- Begin function _ZN9rocsparseL16kernel_calculateILi1024ELi1ELb0EfiiEEvT4_T3_PKS2_S4_PKS1_PKT2_21rocsparse_index_base_S4_S4_S6_S4_S4_S6_S4_PS7_PNS_15floating_traitsIS7_E6data_tEPKSE_
	.p2align	8
	.type	_ZN9rocsparseL16kernel_calculateILi1024ELi1ELb0EfiiEEvT4_T3_PKS2_S4_PKS1_PKT2_21rocsparse_index_base_S4_S4_S6_S4_S4_S6_S4_PS7_PNS_15floating_traitsIS7_E6data_tEPKSE_,@function
_ZN9rocsparseL16kernel_calculateILi1024ELi1ELb0EfiiEEvT4_T3_PKS2_S4_PKS1_PKT2_21rocsparse_index_base_S4_S4_S6_S4_S4_S6_S4_PS7_PNS_15floating_traitsIS7_E6data_tEPKSE_: ; @_ZN9rocsparseL16kernel_calculateILi1024ELi1ELb0EfiiEEvT4_T3_PKS2_S4_PKS1_PKT2_21rocsparse_index_base_S4_S4_S6_S4_S4_S6_S4_PS7_PNS_15floating_traitsIS7_E6data_tEPKSE_
; %bb.0:
	s_load_dword s3, s[0:1], 0x0
	v_lshl_or_b32 v0, s2, 10, v0
	s_waitcnt lgkmcnt(0)
	v_cmp_gt_i32_e32 vcc, s3, v0
	s_and_saveexec_b64 s[2:3], vcc
	s_cbranch_execz .LBB9_12
; %bb.1:
	s_load_dwordx4 s[4:7], s[0:1], 0x8
	v_ashrrev_i32_e32 v1, 31, v0
	v_lshlrev_b64 v[2:3], 2, v[0:1]
	s_waitcnt lgkmcnt(0)
	v_lshl_add_u64 v[6:7], s[6:7], 0, v[2:3]
	v_lshl_add_u64 v[8:9], s[4:5], 0, v[2:3]
	global_load_dword v1, v[6:7], off
	global_load_dword v4, v[8:9], off
	s_waitcnt vmcnt(0)
	v_cmp_lt_i32_e32 vcc, v4, v1
	s_and_b64 exec, exec, vcc
	s_cbranch_execz .LBB9_12
; %bb.2:
	s_load_dwordx8 s[4:11], s[0:1], 0x30
	s_movk_i32 s29, 0x1f8
	s_waitcnt lgkmcnt(0)
	v_lshl_add_u64 v[6:7], s[4:5], 0, v[2:3]
	v_lshl_add_u64 v[2:3], s[6:7], 0, v[2:3]
	global_load_dword v5, v[2:3], off
	global_load_dword v8, v[6:7], off
	s_load_dword s28, s[0:1], 0x28
	s_load_dwordx4 s[20:23], s[0:1], 0x18
	s_load_dwordx8 s[12:19], s[0:1], 0x50
	s_mov_b64 s[4:5], 0
	s_waitcnt lgkmcnt(0)
	v_subrev_u32_e32 v1, s28, v1
	v_subrev_u32_e32 v2, s28, v4
	s_waitcnt vmcnt(1)
	v_subrev_u32_e32 v10, s28, v5
	s_waitcnt vmcnt(0)
	v_cmp_lt_i32_e64 s[0:1], v8, v5
	v_subrev_u32_e32 v11, s28, v8
	s_branch .LBB9_4
.LBB9_3:                                ;   in Loop: Header=BB9_4 Depth=1
	s_or_b64 exec, exec, s[2:3]
	v_add_u32_e32 v2, 1, v2
	v_cmp_ge_i32_e32 vcc, v2, v1
	s_or_b64 s[4:5], vcc, s[4:5]
	s_andn2_b64 exec, exec, s[4:5]
	s_cbranch_execz .LBB9_12
.LBB9_4:                                ; =>This Loop Header: Depth=1
                                        ;     Child Loop BB9_7 Depth 2
	v_ashrrev_i32_e32 v3, 31, v2
	v_lshlrev_b64 v[6:7], 2, v[2:3]
	v_lshl_add_u64 v[4:5], s[20:21], 0, v[6:7]
	global_load_dword v4, v[4:5], off
	v_lshl_add_u64 v[6:7], s[22:23], 0, v[6:7]
	s_waitcnt vmcnt(0)
	v_subrev_u32_e32 v4, s28, v4
	v_ashrrev_i32_e32 v5, 31, v4
	v_lshlrev_b64 v[8:9], 2, v[4:5]
	v_lshl_add_u64 v[12:13], s[6:7], 0, v[8:9]
	global_load_dword v5, v[12:13], off
	v_mov_b32_e32 v13, 0
	global_load_dword v12, v[6:7], off
	v_lshl_add_u64 v[6:7], s[12:13], 0, v[8:9]
	v_lshl_add_u64 v[8:9], s[10:11], 0, v[8:9]
	global_load_dword v6, v[6:7], off
	s_waitcnt vmcnt(2)
	v_subrev_u32_e32 v14, s28, v5
	global_load_dword v7, v[8:9], off
	v_ashrrev_i32_e32 v15, 31, v14
	v_lshl_add_u64 v[8:9], v[14:15], 2, s[18:19]
	global_load_dword v5, v[8:9], off
	s_waitcnt vmcnt(1)
	v_cmp_lt_i32_e32 vcc, v7, v6
	s_and_b64 s[2:3], s[0:1], vcc
	s_and_saveexec_b64 s[24:25], s[2:3]
	s_cbranch_execz .LBB9_10
; %bb.5:                                ;   in Loop: Header=BB9_4 Depth=1
	v_subrev_u32_e32 v14, s28, v6
	v_subrev_u32_e32 v6, s28, v7
	v_mov_b32_e32 v13, 0
	s_mov_b64 s[26:27], 0
	v_mov_b32_e32 v8, v11
	s_branch .LBB9_7
.LBB9_6:                                ;   in Loop: Header=BB9_7 Depth=2
	s_or_b64 exec, exec, s[2:3]
	v_cmp_le_i32_e32 vcc, v15, v16
	s_nop 1
	v_addc_co_u32_e32 v8, vcc, 0, v8, vcc
	v_cmp_ge_i32_e32 vcc, v15, v16
	s_nop 1
	v_addc_co_u32_e32 v6, vcc, 0, v6, vcc
	v_cmp_ge_i32_e32 vcc, v8, v10
	v_cmp_ge_i32_e64 s[2:3], v6, v14
	s_or_b64 s[2:3], vcc, s[2:3]
	s_and_b64 s[2:3], exec, s[2:3]
	s_or_b64 s[26:27], s[2:3], s[26:27]
	s_andn2_b64 exec, exec, s[26:27]
	s_cbranch_execz .LBB9_9
.LBB9_7:                                ;   Parent Loop BB9_4 Depth=1
                                        ; =>  This Inner Loop Header: Depth=2
	v_ashrrev_i32_e32 v9, 31, v8
	v_lshl_add_u64 v[16:17], v[8:9], 2, s[8:9]
	v_ashrrev_i32_e32 v7, 31, v6
	global_load_dword v15, v[16:17], off
	v_lshl_add_u64 v[16:17], v[6:7], 2, s[14:15]
	global_load_dword v16, v[16:17], off
	s_waitcnt vmcnt(0)
	v_cmp_eq_u32_e32 vcc, v15, v16
	s_and_saveexec_b64 s[2:3], vcc
	s_cbranch_execz .LBB9_6
; %bb.8:                                ;   in Loop: Header=BB9_7 Depth=2
	v_lshl_add_u64 v[18:19], v[6:7], 2, s[16:17]
	global_load_dword v18, v[18:19], off
	v_lshl_add_u64 v[20:21], v[8:9], 2, s[18:19]
	global_load_dword v7, v[20:21], off
	s_waitcnt vmcnt(1)
	v_ashrrev_i32_e32 v19, 31, v18
	v_lshl_add_u64 v[18:19], v[18:19], 2, s[18:19]
	global_load_dword v9, v[18:19], off
	s_waitcnt vmcnt(0)
	v_fmac_f32_e32 v13, v7, v9
	s_branch .LBB9_6
.LBB9_9:                                ;   in Loop: Header=BB9_4 Depth=1
	s_or_b64 exec, exec, s[26:27]
.LBB9_10:                               ;   in Loop: Header=BB9_4 Depth=1
	s_or_b64 exec, exec, s[24:25]
	v_sub_f32_e32 v6, v12, v13
	s_waitcnt vmcnt(0)
	v_div_scale_f32 v7, s[2:3], v5, v5, v6
	v_rcp_f32_e32 v8, v7
	v_div_scale_f32 v9, vcc, v6, v5, v6
	v_fma_f32 v12, -v7, v8, 1.0
	v_fmac_f32_e32 v8, v12, v8
	v_mul_f32_e32 v12, v9, v8
	v_fma_f32 v13, -v7, v12, v9
	v_fmac_f32_e32 v12, v13, v8
	v_fma_f32 v7, -v7, v12, v9
	v_div_fmas_f32 v7, v7, v8, v12
	v_div_fixup_f32 v5, v7, v5, v6
	v_cmp_gt_i32_e32 vcc, v0, v4
	s_nop 1
	v_cndmask_b32_e32 v4, v6, v5, vcc
	v_cmp_class_f32_e64 s[24:25], v4, s29
	s_and_saveexec_b64 s[2:3], s[24:25]
	s_cbranch_execz .LBB9_3
; %bb.11:                               ;   in Loop: Header=BB9_4 Depth=1
	v_lshl_add_u64 v[6:7], v[2:3], 2, s[18:19]
	global_store_dword v[6:7], v4, off
	s_branch .LBB9_3
.LBB9_12:
	s_endpgm
	.section	.rodata,"a",@progbits
	.p2align	6, 0x0
	.amdhsa_kernel _ZN9rocsparseL16kernel_calculateILi1024ELi1ELb0EfiiEEvT4_T3_PKS2_S4_PKS1_PKT2_21rocsparse_index_base_S4_S4_S6_S4_S4_S6_S4_PS7_PNS_15floating_traitsIS7_E6data_tEPKSE_
		.amdhsa_group_segment_fixed_size 0
		.amdhsa_private_segment_fixed_size 0
		.amdhsa_kernarg_size 128
		.amdhsa_user_sgpr_count 2
		.amdhsa_user_sgpr_dispatch_ptr 0
		.amdhsa_user_sgpr_queue_ptr 0
		.amdhsa_user_sgpr_kernarg_segment_ptr 1
		.amdhsa_user_sgpr_dispatch_id 0
		.amdhsa_user_sgpr_kernarg_preload_length 0
		.amdhsa_user_sgpr_kernarg_preload_offset 0
		.amdhsa_user_sgpr_private_segment_size 0
		.amdhsa_uses_dynamic_stack 0
		.amdhsa_enable_private_segment 0
		.amdhsa_system_sgpr_workgroup_id_x 1
		.amdhsa_system_sgpr_workgroup_id_y 0
		.amdhsa_system_sgpr_workgroup_id_z 0
		.amdhsa_system_sgpr_workgroup_info 0
		.amdhsa_system_vgpr_workitem_id 0
		.amdhsa_next_free_vgpr 22
		.amdhsa_next_free_sgpr 30
		.amdhsa_accum_offset 24
		.amdhsa_reserve_vcc 1
		.amdhsa_float_round_mode_32 0
		.amdhsa_float_round_mode_16_64 0
		.amdhsa_float_denorm_mode_32 3
		.amdhsa_float_denorm_mode_16_64 3
		.amdhsa_dx10_clamp 1
		.amdhsa_ieee_mode 1
		.amdhsa_fp16_overflow 0
		.amdhsa_tg_split 0
		.amdhsa_exception_fp_ieee_invalid_op 0
		.amdhsa_exception_fp_denorm_src 0
		.amdhsa_exception_fp_ieee_div_zero 0
		.amdhsa_exception_fp_ieee_overflow 0
		.amdhsa_exception_fp_ieee_underflow 0
		.amdhsa_exception_fp_ieee_inexact 0
		.amdhsa_exception_int_div_zero 0
	.end_amdhsa_kernel
	.section	.text._ZN9rocsparseL16kernel_calculateILi1024ELi1ELb0EfiiEEvT4_T3_PKS2_S4_PKS1_PKT2_21rocsparse_index_base_S4_S4_S6_S4_S4_S6_S4_PS7_PNS_15floating_traitsIS7_E6data_tEPKSE_,"axG",@progbits,_ZN9rocsparseL16kernel_calculateILi1024ELi1ELb0EfiiEEvT4_T3_PKS2_S4_PKS1_PKT2_21rocsparse_index_base_S4_S4_S6_S4_S4_S6_S4_PS7_PNS_15floating_traitsIS7_E6data_tEPKSE_,comdat
.Lfunc_end9:
	.size	_ZN9rocsparseL16kernel_calculateILi1024ELi1ELb0EfiiEEvT4_T3_PKS2_S4_PKS1_PKT2_21rocsparse_index_base_S4_S4_S6_S4_S4_S6_S4_PS7_PNS_15floating_traitsIS7_E6data_tEPKSE_, .Lfunc_end9-_ZN9rocsparseL16kernel_calculateILi1024ELi1ELb0EfiiEEvT4_T3_PKS2_S4_PKS1_PKT2_21rocsparse_index_base_S4_S4_S6_S4_S4_S6_S4_PS7_PNS_15floating_traitsIS7_E6data_tEPKSE_
                                        ; -- End function
	.set _ZN9rocsparseL16kernel_calculateILi1024ELi1ELb0EfiiEEvT4_T3_PKS2_S4_PKS1_PKT2_21rocsparse_index_base_S4_S4_S6_S4_S4_S6_S4_PS7_PNS_15floating_traitsIS7_E6data_tEPKSE_.num_vgpr, 22
	.set _ZN9rocsparseL16kernel_calculateILi1024ELi1ELb0EfiiEEvT4_T3_PKS2_S4_PKS1_PKT2_21rocsparse_index_base_S4_S4_S6_S4_S4_S6_S4_PS7_PNS_15floating_traitsIS7_E6data_tEPKSE_.num_agpr, 0
	.set _ZN9rocsparseL16kernel_calculateILi1024ELi1ELb0EfiiEEvT4_T3_PKS2_S4_PKS1_PKT2_21rocsparse_index_base_S4_S4_S6_S4_S4_S6_S4_PS7_PNS_15floating_traitsIS7_E6data_tEPKSE_.numbered_sgpr, 30
	.set _ZN9rocsparseL16kernel_calculateILi1024ELi1ELb0EfiiEEvT4_T3_PKS2_S4_PKS1_PKT2_21rocsparse_index_base_S4_S4_S6_S4_S4_S6_S4_PS7_PNS_15floating_traitsIS7_E6data_tEPKSE_.num_named_barrier, 0
	.set _ZN9rocsparseL16kernel_calculateILi1024ELi1ELb0EfiiEEvT4_T3_PKS2_S4_PKS1_PKT2_21rocsparse_index_base_S4_S4_S6_S4_S4_S6_S4_PS7_PNS_15floating_traitsIS7_E6data_tEPKSE_.private_seg_size, 0
	.set _ZN9rocsparseL16kernel_calculateILi1024ELi1ELb0EfiiEEvT4_T3_PKS2_S4_PKS1_PKT2_21rocsparse_index_base_S4_S4_S6_S4_S4_S6_S4_PS7_PNS_15floating_traitsIS7_E6data_tEPKSE_.uses_vcc, 1
	.set _ZN9rocsparseL16kernel_calculateILi1024ELi1ELb0EfiiEEvT4_T3_PKS2_S4_PKS1_PKT2_21rocsparse_index_base_S4_S4_S6_S4_S4_S6_S4_PS7_PNS_15floating_traitsIS7_E6data_tEPKSE_.uses_flat_scratch, 0
	.set _ZN9rocsparseL16kernel_calculateILi1024ELi1ELb0EfiiEEvT4_T3_PKS2_S4_PKS1_PKT2_21rocsparse_index_base_S4_S4_S6_S4_S4_S6_S4_PS7_PNS_15floating_traitsIS7_E6data_tEPKSE_.has_dyn_sized_stack, 0
	.set _ZN9rocsparseL16kernel_calculateILi1024ELi1ELb0EfiiEEvT4_T3_PKS2_S4_PKS1_PKT2_21rocsparse_index_base_S4_S4_S6_S4_S4_S6_S4_PS7_PNS_15floating_traitsIS7_E6data_tEPKSE_.has_recursion, 0
	.set _ZN9rocsparseL16kernel_calculateILi1024ELi1ELb0EfiiEEvT4_T3_PKS2_S4_PKS1_PKT2_21rocsparse_index_base_S4_S4_S6_S4_S4_S6_S4_PS7_PNS_15floating_traitsIS7_E6data_tEPKSE_.has_indirect_call, 0
	.section	.AMDGPU.csdata,"",@progbits
; Kernel info:
; codeLenInByte = 756
; TotalNumSgprs: 36
; NumVgprs: 22
; NumAgprs: 0
; TotalNumVgprs: 22
; ScratchSize: 0
; MemoryBound: 0
; FloatMode: 240
; IeeeMode: 1
; LDSByteSize: 0 bytes/workgroup (compile time only)
; SGPRBlocks: 4
; VGPRBlocks: 2
; NumSGPRsForWavesPerEU: 36
; NumVGPRsForWavesPerEU: 22
; AccumOffset: 24
; Occupancy: 8
; WaveLimiterHint : 1
; COMPUTE_PGM_RSRC2:SCRATCH_EN: 0
; COMPUTE_PGM_RSRC2:USER_SGPR: 2
; COMPUTE_PGM_RSRC2:TRAP_HANDLER: 0
; COMPUTE_PGM_RSRC2:TGID_X_EN: 1
; COMPUTE_PGM_RSRC2:TGID_Y_EN: 0
; COMPUTE_PGM_RSRC2:TGID_Z_EN: 0
; COMPUTE_PGM_RSRC2:TIDIG_COMP_CNT: 0
; COMPUTE_PGM_RSRC3_GFX90A:ACCUM_OFFSET: 5
; COMPUTE_PGM_RSRC3_GFX90A:TG_SPLIT: 0
	.section	.text._ZN9rocsparseL16kernel_calculateILi1024ELi2ELb0EfiiEEvT4_T3_PKS2_S4_PKS1_PKT2_21rocsparse_index_base_S4_S4_S6_S4_S4_S6_S4_PS7_PNS_15floating_traitsIS7_E6data_tEPKSE_,"axG",@progbits,_ZN9rocsparseL16kernel_calculateILi1024ELi2ELb0EfiiEEvT4_T3_PKS2_S4_PKS1_PKT2_21rocsparse_index_base_S4_S4_S6_S4_S4_S6_S4_PS7_PNS_15floating_traitsIS7_E6data_tEPKSE_,comdat
	.globl	_ZN9rocsparseL16kernel_calculateILi1024ELi2ELb0EfiiEEvT4_T3_PKS2_S4_PKS1_PKT2_21rocsparse_index_base_S4_S4_S6_S4_S4_S6_S4_PS7_PNS_15floating_traitsIS7_E6data_tEPKSE_ ; -- Begin function _ZN9rocsparseL16kernel_calculateILi1024ELi2ELb0EfiiEEvT4_T3_PKS2_S4_PKS1_PKT2_21rocsparse_index_base_S4_S4_S6_S4_S4_S6_S4_PS7_PNS_15floating_traitsIS7_E6data_tEPKSE_
	.p2align	8
	.type	_ZN9rocsparseL16kernel_calculateILi1024ELi2ELb0EfiiEEvT4_T3_PKS2_S4_PKS1_PKT2_21rocsparse_index_base_S4_S4_S6_S4_S4_S6_S4_PS7_PNS_15floating_traitsIS7_E6data_tEPKSE_,@function
_ZN9rocsparseL16kernel_calculateILi1024ELi2ELb0EfiiEEvT4_T3_PKS2_S4_PKS1_PKT2_21rocsparse_index_base_S4_S4_S6_S4_S4_S6_S4_PS7_PNS_15floating_traitsIS7_E6data_tEPKSE_: ; @_ZN9rocsparseL16kernel_calculateILi1024ELi2ELb0EfiiEEvT4_T3_PKS2_S4_PKS1_PKT2_21rocsparse_index_base_S4_S4_S6_S4_S4_S6_S4_PS7_PNS_15floating_traitsIS7_E6data_tEPKSE_
; %bb.0:
	s_load_dword s34, s[0:1], 0x0
	v_lshrrev_b32_e32 v1, 1, v0
	v_lshl_or_b32 v4, s2, 10, v1
	s_waitcnt lgkmcnt(0)
	v_cmp_gt_i32_e32 vcc, s34, v4
	s_and_saveexec_b64 s[2:3], vcc
	s_cbranch_execz .LBB10_24
; %bb.1:
	s_load_dwordx8 s[4:11], s[0:1], 0x8
	v_ashrrev_i32_e32 v5, 31, v4
	v_lshlrev_b64 v[2:3], 2, v[4:5]
	v_and_b32_e32 v0, 1, v0
	s_waitcnt lgkmcnt(0)
	v_lshl_add_u64 v[6:7], s[6:7], 0, v[2:3]
	v_lshl_add_u64 v[8:9], s[4:5], 0, v[2:3]
	global_load_dword v1, v[6:7], off
	global_load_dword v10, v[8:9], off
	s_load_dword s33, s[0:1], 0x28
	s_load_dwordx8 s[12:19], s[0:1], 0x50
	s_load_dwordx8 s[20:27], s[0:1], 0x30
	s_waitcnt lgkmcnt(0)
	v_subrev_u32_e32 v5, s33, v0
	s_waitcnt vmcnt(1)
	v_subrev_u32_e32 v16, s33, v1
	s_waitcnt vmcnt(0)
	v_add_u32_e32 v0, v5, v10
	v_cmp_lt_i32_e32 vcc, v0, v16
	s_and_saveexec_b64 s[4:5], vcc
	s_cbranch_execz .LBB10_12
; %bb.2:
	v_lshl_add_u64 v[10:11], s[22:23], 0, v[2:3]
	global_load_dword v1, v[10:11], off
	v_lshl_add_u64 v[10:11], s[20:21], 0, v[2:3]
	global_load_dword v10, v[10:11], off
	s_mov_b64 s[6:7], 0
	s_movk_i32 s35, 0x1f8
	s_waitcnt vmcnt(1)
	v_subrev_u32_e32 v17, s33, v1
	s_waitcnt vmcnt(0)
	v_cmp_lt_i32_e64 s[0:1], v10, v1
	v_subrev_u32_e32 v18, s33, v10
	s_branch .LBB10_4
.LBB10_3:                               ;   in Loop: Header=BB10_4 Depth=1
	s_or_b64 exec, exec, s[2:3]
	v_add_u32_e32 v0, 2, v0
	v_cmp_ge_i32_e32 vcc, v0, v16
	s_or_b64 s[6:7], vcc, s[6:7]
	s_andn2_b64 exec, exec, s[6:7]
	s_cbranch_execz .LBB10_12
.LBB10_4:                               ; =>This Loop Header: Depth=1
                                        ;     Child Loop BB10_7 Depth 2
	v_ashrrev_i32_e32 v1, 31, v0
	v_lshlrev_b64 v[12:13], 2, v[0:1]
	v_lshl_add_u64 v[10:11], s[8:9], 0, v[12:13]
	global_load_dword v10, v[10:11], off
	v_lshl_add_u64 v[12:13], s[10:11], 0, v[12:13]
	global_load_dword v19, v[12:13], off
	s_waitcnt vmcnt(1)
	v_subrev_u32_e32 v10, s33, v10
	v_ashrrev_i32_e32 v11, 31, v10
	v_lshlrev_b64 v[14:15], 2, v[10:11]
	v_lshl_add_u64 v[20:21], s[22:23], 0, v[14:15]
	global_load_dword v11, v[20:21], off
	v_lshl_add_u64 v[12:13], s[12:13], 0, v[14:15]
	v_lshl_add_u64 v[14:15], s[26:27], 0, v[14:15]
	global_load_dword v12, v[12:13], off
	s_waitcnt vmcnt(1)
	v_subrev_u32_e32 v20, s33, v11
	global_load_dword v13, v[14:15], off
	v_ashrrev_i32_e32 v21, 31, v20
	v_lshl_add_u64 v[14:15], v[20:21], 2, s[18:19]
	global_load_dword v11, v[14:15], off
	v_mov_b32_e32 v20, 0
	s_waitcnt vmcnt(1)
	v_cmp_lt_i32_e32 vcc, v13, v12
	s_and_b64 s[2:3], s[0:1], vcc
	s_and_saveexec_b64 s[28:29], s[2:3]
	s_cbranch_execz .LBB10_10
; %bb.5:                                ;   in Loop: Header=BB10_4 Depth=1
	v_subrev_u32_e32 v21, s33, v12
	v_subrev_u32_e32 v12, s33, v13
	v_mov_b32_e32 v20, 0
	s_mov_b64 s[30:31], 0
	v_mov_b32_e32 v14, v18
	s_branch .LBB10_7
.LBB10_6:                               ;   in Loop: Header=BB10_7 Depth=2
	s_or_b64 exec, exec, s[2:3]
	v_cmp_le_i32_e32 vcc, v22, v23
	s_nop 1
	v_addc_co_u32_e32 v14, vcc, 0, v14, vcc
	v_cmp_ge_i32_e32 vcc, v22, v23
	s_nop 1
	v_addc_co_u32_e32 v12, vcc, 0, v12, vcc
	v_cmp_ge_i32_e32 vcc, v14, v17
	v_cmp_ge_i32_e64 s[2:3], v12, v21
	s_or_b64 s[2:3], vcc, s[2:3]
	s_and_b64 s[2:3], exec, s[2:3]
	s_or_b64 s[30:31], s[2:3], s[30:31]
	s_andn2_b64 exec, exec, s[30:31]
	s_cbranch_execz .LBB10_9
.LBB10_7:                               ;   Parent Loop BB10_4 Depth=1
                                        ; =>  This Inner Loop Header: Depth=2
	v_ashrrev_i32_e32 v15, 31, v14
	v_ashrrev_i32_e32 v13, 31, v12
	v_lshl_add_u64 v[22:23], v[14:15], 2, s[24:25]
	v_lshl_add_u64 v[24:25], v[12:13], 2, s[14:15]
	global_load_dword v22, v[22:23], off
	s_nop 0
	global_load_dword v23, v[24:25], off
	s_waitcnt vmcnt(0)
	v_cmp_eq_u32_e32 vcc, v22, v23
	s_and_saveexec_b64 s[2:3], vcc
	s_cbranch_execz .LBB10_6
; %bb.8:                                ;   in Loop: Header=BB10_7 Depth=2
	v_lshl_add_u64 v[24:25], v[12:13], 2, s[16:17]
	global_load_dword v24, v[24:25], off
	v_lshl_add_u64 v[26:27], v[14:15], 2, s[18:19]
	global_load_dword v13, v[26:27], off
	s_waitcnt vmcnt(1)
	v_ashrrev_i32_e32 v25, 31, v24
	v_lshl_add_u64 v[24:25], v[24:25], 2, s[18:19]
	global_load_dword v15, v[24:25], off
	s_waitcnt vmcnt(0)
	v_fmac_f32_e32 v20, v13, v15
	s_branch .LBB10_6
.LBB10_9:                               ;   in Loop: Header=BB10_4 Depth=1
	s_or_b64 exec, exec, s[30:31]
.LBB10_10:                              ;   in Loop: Header=BB10_4 Depth=1
	s_or_b64 exec, exec, s[28:29]
	v_sub_f32_e32 v12, v19, v20
	s_waitcnt vmcnt(0)
	v_div_scale_f32 v13, s[2:3], v11, v11, v12
	v_rcp_f32_e32 v14, v13
	v_div_scale_f32 v15, vcc, v12, v11, v12
	v_fma_f32 v19, -v13, v14, 1.0
	v_fmac_f32_e32 v14, v19, v14
	v_mul_f32_e32 v19, v15, v14
	v_fma_f32 v20, -v13, v19, v15
	v_fmac_f32_e32 v19, v20, v14
	v_fma_f32 v13, -v13, v19, v15
	v_div_fmas_f32 v13, v13, v14, v19
	v_div_fixup_f32 v11, v13, v11, v12
	v_cmp_gt_i32_e32 vcc, v4, v10
	s_nop 1
	v_cndmask_b32_e32 v10, v12, v11, vcc
	v_cmp_class_f32_e64 s[28:29], v10, s35
	s_and_saveexec_b64 s[2:3], s[28:29]
	s_cbranch_execz .LBB10_3
; %bb.11:                               ;   in Loop: Header=BB10_4 Depth=1
	v_lshl_add_u64 v[12:13], v[0:1], 2, s[18:19]
	global_store_dword v[12:13], v10, off
	s_branch .LBB10_3
.LBB10_12:
	s_or_b64 exec, exec, s[4:5]
	v_or_b32_e32 v10, 0x200, v4
	v_cmp_gt_i32_e32 vcc, s34, v10
	s_and_b64 exec, exec, vcc
	s_cbranch_execz .LBB10_24
; %bb.13:
	global_load_dword v0, v[6:7], off offset:2048
	global_load_dword v1, v[8:9], off offset:2048
	s_waitcnt vmcnt(1)
	v_subrev_u32_e32 v8, s33, v0
	s_waitcnt vmcnt(0)
	v_add_u32_e32 v0, v5, v1
	v_cmp_lt_i32_e32 vcc, v0, v8
	s_and_b64 exec, exec, vcc
	s_cbranch_execz .LBB10_24
; %bb.14:
	v_lshl_add_u64 v[4:5], s[22:23], 0, v[2:3]
	v_lshl_add_u64 v[2:3], s[20:21], 0, v[2:3]
	global_load_dword v1, v[4:5], off offset:2048
	s_mov_b64 s[4:5], 0
	global_load_dword v2, v[2:3], off offset:2048
	s_movk_i32 s28, 0x1f8
	s_waitcnt vmcnt(1)
	v_subrev_u32_e32 v9, s33, v1
	s_waitcnt vmcnt(0)
	v_cmp_lt_i32_e64 s[0:1], v2, v1
	v_subrev_u32_e32 v11, s33, v2
	s_branch .LBB10_16
.LBB10_15:                              ;   in Loop: Header=BB10_16 Depth=1
	s_or_b64 exec, exec, s[2:3]
	v_add_u32_e32 v0, 2, v0
	v_cmp_ge_i32_e32 vcc, v0, v8
	s_or_b64 s[4:5], vcc, s[4:5]
	s_andn2_b64 exec, exec, s[4:5]
	s_cbranch_execz .LBB10_24
.LBB10_16:                              ; =>This Loop Header: Depth=1
                                        ;     Child Loop BB10_19 Depth 2
	v_ashrrev_i32_e32 v1, 31, v0
	v_lshlrev_b64 v[4:5], 2, v[0:1]
	v_lshl_add_u64 v[2:3], s[8:9], 0, v[4:5]
	global_load_dword v2, v[2:3], off
	v_lshl_add_u64 v[4:5], s[10:11], 0, v[4:5]
	s_waitcnt vmcnt(0)
	v_subrev_u32_e32 v2, s33, v2
	v_ashrrev_i32_e32 v3, 31, v2
	v_lshlrev_b64 v[6:7], 2, v[2:3]
	v_lshl_add_u64 v[12:13], s[22:23], 0, v[6:7]
	global_load_dword v3, v[12:13], off
	v_mov_b32_e32 v13, 0
	global_load_dword v12, v[4:5], off
	v_lshl_add_u64 v[4:5], s[12:13], 0, v[6:7]
	v_lshl_add_u64 v[6:7], s[26:27], 0, v[6:7]
	global_load_dword v4, v[4:5], off
	s_waitcnt vmcnt(2)
	v_subrev_u32_e32 v14, s33, v3
	global_load_dword v5, v[6:7], off
	v_ashrrev_i32_e32 v15, 31, v14
	v_lshl_add_u64 v[6:7], v[14:15], 2, s[18:19]
	global_load_dword v3, v[6:7], off
	s_waitcnt vmcnt(1)
	v_cmp_lt_i32_e32 vcc, v5, v4
	s_and_b64 s[2:3], s[0:1], vcc
	s_and_saveexec_b64 s[6:7], s[2:3]
	s_cbranch_execz .LBB10_22
; %bb.17:                               ;   in Loop: Header=BB10_16 Depth=1
	v_subrev_u32_e32 v14, s33, v4
	v_subrev_u32_e32 v4, s33, v5
	v_mov_b32_e32 v13, 0
	s_mov_b64 s[20:21], 0
	v_mov_b32_e32 v6, v11
	s_branch .LBB10_19
.LBB10_18:                              ;   in Loop: Header=BB10_19 Depth=2
	s_or_b64 exec, exec, s[2:3]
	v_cmp_le_i32_e32 vcc, v15, v16
	s_nop 1
	v_addc_co_u32_e32 v6, vcc, 0, v6, vcc
	v_cmp_ge_i32_e32 vcc, v15, v16
	s_nop 1
	v_addc_co_u32_e32 v4, vcc, 0, v4, vcc
	v_cmp_ge_i32_e32 vcc, v6, v9
	v_cmp_ge_i32_e64 s[2:3], v4, v14
	s_or_b64 s[2:3], vcc, s[2:3]
	s_and_b64 s[2:3], exec, s[2:3]
	s_or_b64 s[20:21], s[2:3], s[20:21]
	s_andn2_b64 exec, exec, s[20:21]
	s_cbranch_execz .LBB10_21
.LBB10_19:                              ;   Parent Loop BB10_16 Depth=1
                                        ; =>  This Inner Loop Header: Depth=2
	v_ashrrev_i32_e32 v7, 31, v6
	v_lshl_add_u64 v[16:17], v[6:7], 2, s[24:25]
	v_ashrrev_i32_e32 v5, 31, v4
	global_load_dword v15, v[16:17], off
	v_lshl_add_u64 v[16:17], v[4:5], 2, s[14:15]
	global_load_dword v16, v[16:17], off
	s_waitcnt vmcnt(0)
	v_cmp_eq_u32_e32 vcc, v15, v16
	s_and_saveexec_b64 s[2:3], vcc
	s_cbranch_execz .LBB10_18
; %bb.20:                               ;   in Loop: Header=BB10_19 Depth=2
	v_lshl_add_u64 v[18:19], v[4:5], 2, s[16:17]
	global_load_dword v18, v[18:19], off
	v_lshl_add_u64 v[20:21], v[6:7], 2, s[18:19]
	global_load_dword v5, v[20:21], off
	s_waitcnt vmcnt(1)
	v_ashrrev_i32_e32 v19, 31, v18
	v_lshl_add_u64 v[18:19], v[18:19], 2, s[18:19]
	global_load_dword v7, v[18:19], off
	s_waitcnt vmcnt(0)
	v_fmac_f32_e32 v13, v5, v7
	s_branch .LBB10_18
.LBB10_21:                              ;   in Loop: Header=BB10_16 Depth=1
	s_or_b64 exec, exec, s[20:21]
.LBB10_22:                              ;   in Loop: Header=BB10_16 Depth=1
	s_or_b64 exec, exec, s[6:7]
	v_sub_f32_e32 v4, v12, v13
	s_waitcnt vmcnt(0)
	v_div_scale_f32 v5, s[2:3], v3, v3, v4
	v_rcp_f32_e32 v6, v5
	v_div_scale_f32 v7, vcc, v4, v3, v4
	v_fma_f32 v12, -v5, v6, 1.0
	v_fmac_f32_e32 v6, v12, v6
	v_mul_f32_e32 v12, v7, v6
	v_fma_f32 v13, -v5, v12, v7
	v_fmac_f32_e32 v12, v13, v6
	v_fma_f32 v5, -v5, v12, v7
	v_div_fmas_f32 v5, v5, v6, v12
	v_div_fixup_f32 v3, v5, v3, v4
	v_cmp_gt_i32_e32 vcc, v10, v2
	s_nop 1
	v_cndmask_b32_e32 v2, v4, v3, vcc
	v_cmp_class_f32_e64 s[6:7], v2, s28
	s_and_saveexec_b64 s[2:3], s[6:7]
	s_cbranch_execz .LBB10_15
; %bb.23:                               ;   in Loop: Header=BB10_16 Depth=1
	v_lshl_add_u64 v[4:5], v[0:1], 2, s[18:19]
	global_store_dword v[4:5], v2, off
	s_branch .LBB10_15
.LBB10_24:
	s_endpgm
	.section	.rodata,"a",@progbits
	.p2align	6, 0x0
	.amdhsa_kernel _ZN9rocsparseL16kernel_calculateILi1024ELi2ELb0EfiiEEvT4_T3_PKS2_S4_PKS1_PKT2_21rocsparse_index_base_S4_S4_S6_S4_S4_S6_S4_PS7_PNS_15floating_traitsIS7_E6data_tEPKSE_
		.amdhsa_group_segment_fixed_size 0
		.amdhsa_private_segment_fixed_size 0
		.amdhsa_kernarg_size 128
		.amdhsa_user_sgpr_count 2
		.amdhsa_user_sgpr_dispatch_ptr 0
		.amdhsa_user_sgpr_queue_ptr 0
		.amdhsa_user_sgpr_kernarg_segment_ptr 1
		.amdhsa_user_sgpr_dispatch_id 0
		.amdhsa_user_sgpr_kernarg_preload_length 0
		.amdhsa_user_sgpr_kernarg_preload_offset 0
		.amdhsa_user_sgpr_private_segment_size 0
		.amdhsa_uses_dynamic_stack 0
		.amdhsa_enable_private_segment 0
		.amdhsa_system_sgpr_workgroup_id_x 1
		.amdhsa_system_sgpr_workgroup_id_y 0
		.amdhsa_system_sgpr_workgroup_id_z 0
		.amdhsa_system_sgpr_workgroup_info 0
		.amdhsa_system_vgpr_workitem_id 0
		.amdhsa_next_free_vgpr 28
		.amdhsa_next_free_sgpr 36
		.amdhsa_accum_offset 28
		.amdhsa_reserve_vcc 1
		.amdhsa_float_round_mode_32 0
		.amdhsa_float_round_mode_16_64 0
		.amdhsa_float_denorm_mode_32 3
		.amdhsa_float_denorm_mode_16_64 3
		.amdhsa_dx10_clamp 1
		.amdhsa_ieee_mode 1
		.amdhsa_fp16_overflow 0
		.amdhsa_tg_split 0
		.amdhsa_exception_fp_ieee_invalid_op 0
		.amdhsa_exception_fp_denorm_src 0
		.amdhsa_exception_fp_ieee_div_zero 0
		.amdhsa_exception_fp_ieee_overflow 0
		.amdhsa_exception_fp_ieee_underflow 0
		.amdhsa_exception_fp_ieee_inexact 0
		.amdhsa_exception_int_div_zero 0
	.end_amdhsa_kernel
	.section	.text._ZN9rocsparseL16kernel_calculateILi1024ELi2ELb0EfiiEEvT4_T3_PKS2_S4_PKS1_PKT2_21rocsparse_index_base_S4_S4_S6_S4_S4_S6_S4_PS7_PNS_15floating_traitsIS7_E6data_tEPKSE_,"axG",@progbits,_ZN9rocsparseL16kernel_calculateILi1024ELi2ELb0EfiiEEvT4_T3_PKS2_S4_PKS1_PKT2_21rocsparse_index_base_S4_S4_S6_S4_S4_S6_S4_PS7_PNS_15floating_traitsIS7_E6data_tEPKSE_,comdat
.Lfunc_end10:
	.size	_ZN9rocsparseL16kernel_calculateILi1024ELi2ELb0EfiiEEvT4_T3_PKS2_S4_PKS1_PKT2_21rocsparse_index_base_S4_S4_S6_S4_S4_S6_S4_PS7_PNS_15floating_traitsIS7_E6data_tEPKSE_, .Lfunc_end10-_ZN9rocsparseL16kernel_calculateILi1024ELi2ELb0EfiiEEvT4_T3_PKS2_S4_PKS1_PKT2_21rocsparse_index_base_S4_S4_S6_S4_S4_S6_S4_PS7_PNS_15floating_traitsIS7_E6data_tEPKSE_
                                        ; -- End function
	.set _ZN9rocsparseL16kernel_calculateILi1024ELi2ELb0EfiiEEvT4_T3_PKS2_S4_PKS1_PKT2_21rocsparse_index_base_S4_S4_S6_S4_S4_S6_S4_PS7_PNS_15floating_traitsIS7_E6data_tEPKSE_.num_vgpr, 28
	.set _ZN9rocsparseL16kernel_calculateILi1024ELi2ELb0EfiiEEvT4_T3_PKS2_S4_PKS1_PKT2_21rocsparse_index_base_S4_S4_S6_S4_S4_S6_S4_PS7_PNS_15floating_traitsIS7_E6data_tEPKSE_.num_agpr, 0
	.set _ZN9rocsparseL16kernel_calculateILi1024ELi2ELb0EfiiEEvT4_T3_PKS2_S4_PKS1_PKT2_21rocsparse_index_base_S4_S4_S6_S4_S4_S6_S4_PS7_PNS_15floating_traitsIS7_E6data_tEPKSE_.numbered_sgpr, 36
	.set _ZN9rocsparseL16kernel_calculateILi1024ELi2ELb0EfiiEEvT4_T3_PKS2_S4_PKS1_PKT2_21rocsparse_index_base_S4_S4_S6_S4_S4_S6_S4_PS7_PNS_15floating_traitsIS7_E6data_tEPKSE_.num_named_barrier, 0
	.set _ZN9rocsparseL16kernel_calculateILi1024ELi2ELb0EfiiEEvT4_T3_PKS2_S4_PKS1_PKT2_21rocsparse_index_base_S4_S4_S6_S4_S4_S6_S4_PS7_PNS_15floating_traitsIS7_E6data_tEPKSE_.private_seg_size, 0
	.set _ZN9rocsparseL16kernel_calculateILi1024ELi2ELb0EfiiEEvT4_T3_PKS2_S4_PKS1_PKT2_21rocsparse_index_base_S4_S4_S6_S4_S4_S6_S4_PS7_PNS_15floating_traitsIS7_E6data_tEPKSE_.uses_vcc, 1
	.set _ZN9rocsparseL16kernel_calculateILi1024ELi2ELb0EfiiEEvT4_T3_PKS2_S4_PKS1_PKT2_21rocsparse_index_base_S4_S4_S6_S4_S4_S6_S4_PS7_PNS_15floating_traitsIS7_E6data_tEPKSE_.uses_flat_scratch, 0
	.set _ZN9rocsparseL16kernel_calculateILi1024ELi2ELb0EfiiEEvT4_T3_PKS2_S4_PKS1_PKT2_21rocsparse_index_base_S4_S4_S6_S4_S4_S6_S4_PS7_PNS_15floating_traitsIS7_E6data_tEPKSE_.has_dyn_sized_stack, 0
	.set _ZN9rocsparseL16kernel_calculateILi1024ELi2ELb0EfiiEEvT4_T3_PKS2_S4_PKS1_PKT2_21rocsparse_index_base_S4_S4_S6_S4_S4_S6_S4_PS7_PNS_15floating_traitsIS7_E6data_tEPKSE_.has_recursion, 0
	.set _ZN9rocsparseL16kernel_calculateILi1024ELi2ELb0EfiiEEvT4_T3_PKS2_S4_PKS1_PKT2_21rocsparse_index_base_S4_S4_S6_S4_S4_S6_S4_PS7_PNS_15floating_traitsIS7_E6data_tEPKSE_.has_indirect_call, 0
	.section	.AMDGPU.csdata,"",@progbits
; Kernel info:
; codeLenInByte = 1432
; TotalNumSgprs: 42
; NumVgprs: 28
; NumAgprs: 0
; TotalNumVgprs: 28
; ScratchSize: 0
; MemoryBound: 0
; FloatMode: 240
; IeeeMode: 1
; LDSByteSize: 0 bytes/workgroup (compile time only)
; SGPRBlocks: 5
; VGPRBlocks: 3
; NumSGPRsForWavesPerEU: 42
; NumVGPRsForWavesPerEU: 28
; AccumOffset: 28
; Occupancy: 8
; WaveLimiterHint : 1
; COMPUTE_PGM_RSRC2:SCRATCH_EN: 0
; COMPUTE_PGM_RSRC2:USER_SGPR: 2
; COMPUTE_PGM_RSRC2:TRAP_HANDLER: 0
; COMPUTE_PGM_RSRC2:TGID_X_EN: 1
; COMPUTE_PGM_RSRC2:TGID_Y_EN: 0
; COMPUTE_PGM_RSRC2:TGID_Z_EN: 0
; COMPUTE_PGM_RSRC2:TIDIG_COMP_CNT: 0
; COMPUTE_PGM_RSRC3_GFX90A:ACCUM_OFFSET: 6
; COMPUTE_PGM_RSRC3_GFX90A:TG_SPLIT: 0
	.section	.text._ZN9rocsparseL16kernel_calculateILi1024ELi4ELb0EfiiEEvT4_T3_PKS2_S4_PKS1_PKT2_21rocsparse_index_base_S4_S4_S6_S4_S4_S6_S4_PS7_PNS_15floating_traitsIS7_E6data_tEPKSE_,"axG",@progbits,_ZN9rocsparseL16kernel_calculateILi1024ELi4ELb0EfiiEEvT4_T3_PKS2_S4_PKS1_PKT2_21rocsparse_index_base_S4_S4_S6_S4_S4_S6_S4_PS7_PNS_15floating_traitsIS7_E6data_tEPKSE_,comdat
	.globl	_ZN9rocsparseL16kernel_calculateILi1024ELi4ELb0EfiiEEvT4_T3_PKS2_S4_PKS1_PKT2_21rocsparse_index_base_S4_S4_S6_S4_S4_S6_S4_PS7_PNS_15floating_traitsIS7_E6data_tEPKSE_ ; -- Begin function _ZN9rocsparseL16kernel_calculateILi1024ELi4ELb0EfiiEEvT4_T3_PKS2_S4_PKS1_PKT2_21rocsparse_index_base_S4_S4_S6_S4_S4_S6_S4_PS7_PNS_15floating_traitsIS7_E6data_tEPKSE_
	.p2align	8
	.type	_ZN9rocsparseL16kernel_calculateILi1024ELi4ELb0EfiiEEvT4_T3_PKS2_S4_PKS1_PKT2_21rocsparse_index_base_S4_S4_S6_S4_S4_S6_S4_PS7_PNS_15floating_traitsIS7_E6data_tEPKSE_,@function
_ZN9rocsparseL16kernel_calculateILi1024ELi4ELb0EfiiEEvT4_T3_PKS2_S4_PKS1_PKT2_21rocsparse_index_base_S4_S4_S6_S4_S4_S6_S4_PS7_PNS_15floating_traitsIS7_E6data_tEPKSE_: ; @_ZN9rocsparseL16kernel_calculateILi1024ELi4ELb0EfiiEEvT4_T3_PKS2_S4_PKS1_PKT2_21rocsparse_index_base_S4_S4_S6_S4_S4_S6_S4_PS7_PNS_15floating_traitsIS7_E6data_tEPKSE_
; %bb.0:
	s_load_dword s33, s[0:1], 0x0
	v_lshrrev_b32_e32 v1, 2, v0
	v_lshl_or_b32 v10, s2, 10, v1
	s_waitcnt lgkmcnt(0)
	v_cmp_gt_i32_e32 vcc, s33, v10
	s_and_saveexec_b64 s[2:3], vcc
	s_cbranch_execz .LBB11_15
; %bb.1:
	s_load_dword s38, s[0:1], 0x28
	s_load_dwordx8 s[4:11], s[0:1], 0x50
	s_load_dwordx8 s[12:19], s[0:1], 0x30
	;; [unrolled: 1-line block ×3, first 2 shown]
	v_and_b32_e32 v0, 3, v0
	s_waitcnt lgkmcnt(0)
	v_subrev_u32_e32 v11, s38, v0
	s_mov_b32 s39, 0
	s_movk_i32 s40, 0x1f8
	s_branch .LBB11_3
.LBB11_2:                               ;   in Loop: Header=BB11_3 Depth=1
	s_or_b64 exec, exec, s[28:29]
	s_add_i32 s39, s39, 1
	s_cmp_lg_u32 s39, 4
	s_cbranch_scc0 .LBB11_15
.LBB11_3:                               ; =>This Loop Header: Depth=1
                                        ;     Child Loop BB11_7 Depth 2
                                        ;       Child Loop BB11_10 Depth 3
	v_lshl_add_u32 v0, s39, 8, v10
	v_cmp_gt_i32_e32 vcc, s33, v0
	s_and_saveexec_b64 s[28:29], vcc
	s_cbranch_execz .LBB11_2
; %bb.4:                                ;   in Loop: Header=BB11_3 Depth=1
	v_ashrrev_i32_e32 v1, 31, v0
	v_lshlrev_b64 v[4:5], 2, v[0:1]
	v_lshl_add_u64 v[2:3], s[22:23], 0, v[4:5]
	global_load_dword v1, v[2:3], off
	v_lshl_add_u64 v[2:3], s[20:21], 0, v[4:5]
	global_load_dword v2, v[2:3], off
	s_waitcnt vmcnt(1)
	v_subrev_u32_e32 v1, s38, v1
	s_waitcnt vmcnt(0)
	v_add_u32_e32 v2, v11, v2
	v_cmp_lt_i32_e32 vcc, v2, v1
	s_and_b64 exec, exec, vcc
	s_cbranch_execz .LBB11_2
; %bb.5:                                ;   in Loop: Header=BB11_3 Depth=1
	v_lshl_add_u64 v[6:7], s[14:15], 0, v[4:5]
	v_lshl_add_u64 v[4:5], s[12:13], 0, v[4:5]
	global_load_dword v3, v[6:7], off
	s_mov_b64 s[30:31], 0
	global_load_dword v4, v[4:5], off
	s_waitcnt vmcnt(1)
	v_subrev_u32_e32 v12, s38, v3
	s_waitcnt vmcnt(0)
	v_cmp_lt_i32_e64 s[0:1], v4, v3
	v_subrev_u32_e32 v13, s38, v4
	s_branch .LBB11_7
.LBB11_6:                               ;   in Loop: Header=BB11_7 Depth=2
	s_or_b64 exec, exec, s[2:3]
	v_add_u32_e32 v2, 4, v2
	v_cmp_ge_i32_e32 vcc, v2, v1
	s_or_b64 s[30:31], vcc, s[30:31]
	s_andn2_b64 exec, exec, s[30:31]
	s_cbranch_execz .LBB11_2
.LBB11_7:                               ;   Parent Loop BB11_3 Depth=1
                                        ; =>  This Loop Header: Depth=2
                                        ;       Child Loop BB11_10 Depth 3
	v_ashrrev_i32_e32 v3, 31, v2
	v_lshlrev_b64 v[6:7], 2, v[2:3]
	v_lshl_add_u64 v[4:5], s[24:25], 0, v[6:7]
	global_load_dword v4, v[4:5], off
	v_lshl_add_u64 v[6:7], s[26:27], 0, v[6:7]
	s_waitcnt vmcnt(0)
	v_subrev_u32_e32 v4, s38, v4
	v_ashrrev_i32_e32 v5, 31, v4
	v_lshlrev_b64 v[8:9], 2, v[4:5]
	v_lshl_add_u64 v[14:15], s[14:15], 0, v[8:9]
	global_load_dword v5, v[14:15], off
	v_mov_b32_e32 v15, 0
	global_load_dword v14, v[6:7], off
	v_lshl_add_u64 v[6:7], s[4:5], 0, v[8:9]
	v_lshl_add_u64 v[8:9], s[18:19], 0, v[8:9]
	global_load_dword v6, v[6:7], off
	s_waitcnt vmcnt(2)
	v_subrev_u32_e32 v16, s38, v5
	global_load_dword v7, v[8:9], off
	v_ashrrev_i32_e32 v17, 31, v16
	v_lshl_add_u64 v[8:9], v[16:17], 2, s[10:11]
	global_load_dword v5, v[8:9], off
	s_waitcnt vmcnt(1)
	v_cmp_lt_i32_e32 vcc, v7, v6
	s_and_b64 s[2:3], s[0:1], vcc
	s_and_saveexec_b64 s[34:35], s[2:3]
	s_cbranch_execz .LBB11_13
; %bb.8:                                ;   in Loop: Header=BB11_7 Depth=2
	v_subrev_u32_e32 v16, s38, v6
	v_subrev_u32_e32 v6, s38, v7
	v_mov_b32_e32 v15, 0
	s_mov_b64 s[36:37], 0
	v_mov_b32_e32 v8, v13
	s_branch .LBB11_10
.LBB11_9:                               ;   in Loop: Header=BB11_10 Depth=3
	s_or_b64 exec, exec, s[2:3]
	v_cmp_le_i32_e32 vcc, v17, v18
	s_nop 1
	v_addc_co_u32_e32 v8, vcc, 0, v8, vcc
	v_cmp_ge_i32_e32 vcc, v17, v18
	s_nop 1
	v_addc_co_u32_e32 v6, vcc, 0, v6, vcc
	v_cmp_ge_i32_e32 vcc, v8, v12
	v_cmp_ge_i32_e64 s[2:3], v6, v16
	s_or_b64 s[2:3], vcc, s[2:3]
	s_and_b64 s[2:3], exec, s[2:3]
	s_or_b64 s[36:37], s[2:3], s[36:37]
	s_andn2_b64 exec, exec, s[36:37]
	s_cbranch_execz .LBB11_12
.LBB11_10:                              ;   Parent Loop BB11_3 Depth=1
                                        ;     Parent Loop BB11_7 Depth=2
                                        ; =>    This Inner Loop Header: Depth=3
	v_ashrrev_i32_e32 v9, 31, v8
	v_lshl_add_u64 v[18:19], v[8:9], 2, s[16:17]
	v_ashrrev_i32_e32 v7, 31, v6
	global_load_dword v17, v[18:19], off
	v_lshl_add_u64 v[18:19], v[6:7], 2, s[6:7]
	global_load_dword v18, v[18:19], off
	s_waitcnt vmcnt(0)
	v_cmp_eq_u32_e32 vcc, v17, v18
	s_and_saveexec_b64 s[2:3], vcc
	s_cbranch_execz .LBB11_9
; %bb.11:                               ;   in Loop: Header=BB11_10 Depth=3
	v_lshl_add_u64 v[20:21], v[6:7], 2, s[8:9]
	global_load_dword v20, v[20:21], off
	v_lshl_add_u64 v[22:23], v[8:9], 2, s[10:11]
	global_load_dword v7, v[22:23], off
	s_waitcnt vmcnt(1)
	v_ashrrev_i32_e32 v21, 31, v20
	v_lshl_add_u64 v[20:21], v[20:21], 2, s[10:11]
	global_load_dword v9, v[20:21], off
	s_waitcnt vmcnt(0)
	v_fmac_f32_e32 v15, v7, v9
	s_branch .LBB11_9
.LBB11_12:                              ;   in Loop: Header=BB11_7 Depth=2
	s_or_b64 exec, exec, s[36:37]
.LBB11_13:                              ;   in Loop: Header=BB11_7 Depth=2
	s_or_b64 exec, exec, s[34:35]
	v_sub_f32_e32 v6, v14, v15
	s_waitcnt vmcnt(0)
	v_div_scale_f32 v7, s[2:3], v5, v5, v6
	v_rcp_f32_e32 v8, v7
	v_div_scale_f32 v9, vcc, v6, v5, v6
	v_fma_f32 v14, -v7, v8, 1.0
	v_fmac_f32_e32 v8, v14, v8
	v_mul_f32_e32 v14, v9, v8
	v_fma_f32 v15, -v7, v14, v9
	v_fmac_f32_e32 v14, v15, v8
	v_fma_f32 v7, -v7, v14, v9
	v_div_fmas_f32 v7, v7, v8, v14
	v_div_fixup_f32 v5, v7, v5, v6
	v_cmp_gt_i32_e32 vcc, v0, v4
	s_nop 1
	v_cndmask_b32_e32 v4, v6, v5, vcc
	v_cmp_class_f32_e64 s[34:35], v4, s40
	s_and_saveexec_b64 s[2:3], s[34:35]
	s_cbranch_execz .LBB11_6
; %bb.14:                               ;   in Loop: Header=BB11_7 Depth=2
	v_lshl_add_u64 v[6:7], v[2:3], 2, s[10:11]
	global_store_dword v[6:7], v4, off
	s_branch .LBB11_6
.LBB11_15:
	s_endpgm
	.section	.rodata,"a",@progbits
	.p2align	6, 0x0
	.amdhsa_kernel _ZN9rocsparseL16kernel_calculateILi1024ELi4ELb0EfiiEEvT4_T3_PKS2_S4_PKS1_PKT2_21rocsparse_index_base_S4_S4_S6_S4_S4_S6_S4_PS7_PNS_15floating_traitsIS7_E6data_tEPKSE_
		.amdhsa_group_segment_fixed_size 0
		.amdhsa_private_segment_fixed_size 0
		.amdhsa_kernarg_size 128
		.amdhsa_user_sgpr_count 2
		.amdhsa_user_sgpr_dispatch_ptr 0
		.amdhsa_user_sgpr_queue_ptr 0
		.amdhsa_user_sgpr_kernarg_segment_ptr 1
		.amdhsa_user_sgpr_dispatch_id 0
		.amdhsa_user_sgpr_kernarg_preload_length 0
		.amdhsa_user_sgpr_kernarg_preload_offset 0
		.amdhsa_user_sgpr_private_segment_size 0
		.amdhsa_uses_dynamic_stack 0
		.amdhsa_enable_private_segment 0
		.amdhsa_system_sgpr_workgroup_id_x 1
		.amdhsa_system_sgpr_workgroup_id_y 0
		.amdhsa_system_sgpr_workgroup_id_z 0
		.amdhsa_system_sgpr_workgroup_info 0
		.amdhsa_system_vgpr_workitem_id 0
		.amdhsa_next_free_vgpr 24
		.amdhsa_next_free_sgpr 41
		.amdhsa_accum_offset 24
		.amdhsa_reserve_vcc 1
		.amdhsa_float_round_mode_32 0
		.amdhsa_float_round_mode_16_64 0
		.amdhsa_float_denorm_mode_32 3
		.amdhsa_float_denorm_mode_16_64 3
		.amdhsa_dx10_clamp 1
		.amdhsa_ieee_mode 1
		.amdhsa_fp16_overflow 0
		.amdhsa_tg_split 0
		.amdhsa_exception_fp_ieee_invalid_op 0
		.amdhsa_exception_fp_denorm_src 0
		.amdhsa_exception_fp_ieee_div_zero 0
		.amdhsa_exception_fp_ieee_overflow 0
		.amdhsa_exception_fp_ieee_underflow 0
		.amdhsa_exception_fp_ieee_inexact 0
		.amdhsa_exception_int_div_zero 0
	.end_amdhsa_kernel
	.section	.text._ZN9rocsparseL16kernel_calculateILi1024ELi4ELb0EfiiEEvT4_T3_PKS2_S4_PKS1_PKT2_21rocsparse_index_base_S4_S4_S6_S4_S4_S6_S4_PS7_PNS_15floating_traitsIS7_E6data_tEPKSE_,"axG",@progbits,_ZN9rocsparseL16kernel_calculateILi1024ELi4ELb0EfiiEEvT4_T3_PKS2_S4_PKS1_PKT2_21rocsparse_index_base_S4_S4_S6_S4_S4_S6_S4_PS7_PNS_15floating_traitsIS7_E6data_tEPKSE_,comdat
.Lfunc_end11:
	.size	_ZN9rocsparseL16kernel_calculateILi1024ELi4ELb0EfiiEEvT4_T3_PKS2_S4_PKS1_PKT2_21rocsparse_index_base_S4_S4_S6_S4_S4_S6_S4_PS7_PNS_15floating_traitsIS7_E6data_tEPKSE_, .Lfunc_end11-_ZN9rocsparseL16kernel_calculateILi1024ELi4ELb0EfiiEEvT4_T3_PKS2_S4_PKS1_PKT2_21rocsparse_index_base_S4_S4_S6_S4_S4_S6_S4_PS7_PNS_15floating_traitsIS7_E6data_tEPKSE_
                                        ; -- End function
	.set _ZN9rocsparseL16kernel_calculateILi1024ELi4ELb0EfiiEEvT4_T3_PKS2_S4_PKS1_PKT2_21rocsparse_index_base_S4_S4_S6_S4_S4_S6_S4_PS7_PNS_15floating_traitsIS7_E6data_tEPKSE_.num_vgpr, 24
	.set _ZN9rocsparseL16kernel_calculateILi1024ELi4ELb0EfiiEEvT4_T3_PKS2_S4_PKS1_PKT2_21rocsparse_index_base_S4_S4_S6_S4_S4_S6_S4_PS7_PNS_15floating_traitsIS7_E6data_tEPKSE_.num_agpr, 0
	.set _ZN9rocsparseL16kernel_calculateILi1024ELi4ELb0EfiiEEvT4_T3_PKS2_S4_PKS1_PKT2_21rocsparse_index_base_S4_S4_S6_S4_S4_S6_S4_PS7_PNS_15floating_traitsIS7_E6data_tEPKSE_.numbered_sgpr, 41
	.set _ZN9rocsparseL16kernel_calculateILi1024ELi4ELb0EfiiEEvT4_T3_PKS2_S4_PKS1_PKT2_21rocsparse_index_base_S4_S4_S6_S4_S4_S6_S4_PS7_PNS_15floating_traitsIS7_E6data_tEPKSE_.num_named_barrier, 0
	.set _ZN9rocsparseL16kernel_calculateILi1024ELi4ELb0EfiiEEvT4_T3_PKS2_S4_PKS1_PKT2_21rocsparse_index_base_S4_S4_S6_S4_S4_S6_S4_PS7_PNS_15floating_traitsIS7_E6data_tEPKSE_.private_seg_size, 0
	.set _ZN9rocsparseL16kernel_calculateILi1024ELi4ELb0EfiiEEvT4_T3_PKS2_S4_PKS1_PKT2_21rocsparse_index_base_S4_S4_S6_S4_S4_S6_S4_PS7_PNS_15floating_traitsIS7_E6data_tEPKSE_.uses_vcc, 1
	.set _ZN9rocsparseL16kernel_calculateILi1024ELi4ELb0EfiiEEvT4_T3_PKS2_S4_PKS1_PKT2_21rocsparse_index_base_S4_S4_S6_S4_S4_S6_S4_PS7_PNS_15floating_traitsIS7_E6data_tEPKSE_.uses_flat_scratch, 0
	.set _ZN9rocsparseL16kernel_calculateILi1024ELi4ELb0EfiiEEvT4_T3_PKS2_S4_PKS1_PKT2_21rocsparse_index_base_S4_S4_S6_S4_S4_S6_S4_PS7_PNS_15floating_traitsIS7_E6data_tEPKSE_.has_dyn_sized_stack, 0
	.set _ZN9rocsparseL16kernel_calculateILi1024ELi4ELb0EfiiEEvT4_T3_PKS2_S4_PKS1_PKT2_21rocsparse_index_base_S4_S4_S6_S4_S4_S6_S4_PS7_PNS_15floating_traitsIS7_E6data_tEPKSE_.has_recursion, 0
	.set _ZN9rocsparseL16kernel_calculateILi1024ELi4ELb0EfiiEEvT4_T3_PKS2_S4_PKS1_PKT2_21rocsparse_index_base_S4_S4_S6_S4_S4_S6_S4_PS7_PNS_15floating_traitsIS7_E6data_tEPKSE_.has_indirect_call, 0
	.section	.AMDGPU.csdata,"",@progbits
; Kernel info:
; codeLenInByte = 800
; TotalNumSgprs: 47
; NumVgprs: 24
; NumAgprs: 0
; TotalNumVgprs: 24
; ScratchSize: 0
; MemoryBound: 0
; FloatMode: 240
; IeeeMode: 1
; LDSByteSize: 0 bytes/workgroup (compile time only)
; SGPRBlocks: 5
; VGPRBlocks: 2
; NumSGPRsForWavesPerEU: 47
; NumVGPRsForWavesPerEU: 24
; AccumOffset: 24
; Occupancy: 8
; WaveLimiterHint : 1
; COMPUTE_PGM_RSRC2:SCRATCH_EN: 0
; COMPUTE_PGM_RSRC2:USER_SGPR: 2
; COMPUTE_PGM_RSRC2:TRAP_HANDLER: 0
; COMPUTE_PGM_RSRC2:TGID_X_EN: 1
; COMPUTE_PGM_RSRC2:TGID_Y_EN: 0
; COMPUTE_PGM_RSRC2:TGID_Z_EN: 0
; COMPUTE_PGM_RSRC2:TIDIG_COMP_CNT: 0
; COMPUTE_PGM_RSRC3_GFX90A:ACCUM_OFFSET: 5
; COMPUTE_PGM_RSRC3_GFX90A:TG_SPLIT: 0
	.section	.text._ZN9rocsparseL16kernel_calculateILi1024ELi8ELb0EfiiEEvT4_T3_PKS2_S4_PKS1_PKT2_21rocsparse_index_base_S4_S4_S6_S4_S4_S6_S4_PS7_PNS_15floating_traitsIS7_E6data_tEPKSE_,"axG",@progbits,_ZN9rocsparseL16kernel_calculateILi1024ELi8ELb0EfiiEEvT4_T3_PKS2_S4_PKS1_PKT2_21rocsparse_index_base_S4_S4_S6_S4_S4_S6_S4_PS7_PNS_15floating_traitsIS7_E6data_tEPKSE_,comdat
	.globl	_ZN9rocsparseL16kernel_calculateILi1024ELi8ELb0EfiiEEvT4_T3_PKS2_S4_PKS1_PKT2_21rocsparse_index_base_S4_S4_S6_S4_S4_S6_S4_PS7_PNS_15floating_traitsIS7_E6data_tEPKSE_ ; -- Begin function _ZN9rocsparseL16kernel_calculateILi1024ELi8ELb0EfiiEEvT4_T3_PKS2_S4_PKS1_PKT2_21rocsparse_index_base_S4_S4_S6_S4_S4_S6_S4_PS7_PNS_15floating_traitsIS7_E6data_tEPKSE_
	.p2align	8
	.type	_ZN9rocsparseL16kernel_calculateILi1024ELi8ELb0EfiiEEvT4_T3_PKS2_S4_PKS1_PKT2_21rocsparse_index_base_S4_S4_S6_S4_S4_S6_S4_PS7_PNS_15floating_traitsIS7_E6data_tEPKSE_,@function
_ZN9rocsparseL16kernel_calculateILi1024ELi8ELb0EfiiEEvT4_T3_PKS2_S4_PKS1_PKT2_21rocsparse_index_base_S4_S4_S6_S4_S4_S6_S4_PS7_PNS_15floating_traitsIS7_E6data_tEPKSE_: ; @_ZN9rocsparseL16kernel_calculateILi1024ELi8ELb0EfiiEEvT4_T3_PKS2_S4_PKS1_PKT2_21rocsparse_index_base_S4_S4_S6_S4_S4_S6_S4_PS7_PNS_15floating_traitsIS7_E6data_tEPKSE_
; %bb.0:
	s_load_dword s33, s[0:1], 0x0
	v_lshrrev_b32_e32 v1, 3, v0
	v_lshl_or_b32 v10, s2, 10, v1
	s_waitcnt lgkmcnt(0)
	v_cmp_gt_i32_e32 vcc, s33, v10
	s_and_saveexec_b64 s[2:3], vcc
	s_cbranch_execz .LBB12_15
; %bb.1:
	s_load_dword s38, s[0:1], 0x28
	s_load_dwordx8 s[4:11], s[0:1], 0x50
	s_load_dwordx8 s[12:19], s[0:1], 0x30
	;; [unrolled: 1-line block ×3, first 2 shown]
	v_and_b32_e32 v0, 7, v0
	s_waitcnt lgkmcnt(0)
	v_subrev_u32_e32 v11, s38, v0
	s_mov_b32 s39, 0
	s_movk_i32 s40, 0x1f8
	s_branch .LBB12_3
.LBB12_2:                               ;   in Loop: Header=BB12_3 Depth=1
	s_or_b64 exec, exec, s[28:29]
	s_add_i32 s39, s39, 1
	s_cmp_lg_u32 s39, 8
	s_cbranch_scc0 .LBB12_15
.LBB12_3:                               ; =>This Loop Header: Depth=1
                                        ;     Child Loop BB12_7 Depth 2
                                        ;       Child Loop BB12_10 Depth 3
	v_lshl_add_u32 v0, s39, 7, v10
	v_cmp_gt_i32_e32 vcc, s33, v0
	s_and_saveexec_b64 s[28:29], vcc
	s_cbranch_execz .LBB12_2
; %bb.4:                                ;   in Loop: Header=BB12_3 Depth=1
	v_ashrrev_i32_e32 v1, 31, v0
	v_lshlrev_b64 v[4:5], 2, v[0:1]
	v_lshl_add_u64 v[2:3], s[22:23], 0, v[4:5]
	global_load_dword v1, v[2:3], off
	v_lshl_add_u64 v[2:3], s[20:21], 0, v[4:5]
	global_load_dword v2, v[2:3], off
	s_waitcnt vmcnt(1)
	v_subrev_u32_e32 v1, s38, v1
	s_waitcnt vmcnt(0)
	v_add_u32_e32 v2, v11, v2
	v_cmp_lt_i32_e32 vcc, v2, v1
	s_and_b64 exec, exec, vcc
	s_cbranch_execz .LBB12_2
; %bb.5:                                ;   in Loop: Header=BB12_3 Depth=1
	v_lshl_add_u64 v[6:7], s[14:15], 0, v[4:5]
	v_lshl_add_u64 v[4:5], s[12:13], 0, v[4:5]
	global_load_dword v3, v[6:7], off
	s_mov_b64 s[30:31], 0
	global_load_dword v4, v[4:5], off
	s_waitcnt vmcnt(1)
	v_subrev_u32_e32 v12, s38, v3
	s_waitcnt vmcnt(0)
	v_cmp_lt_i32_e64 s[0:1], v4, v3
	v_subrev_u32_e32 v13, s38, v4
	s_branch .LBB12_7
.LBB12_6:                               ;   in Loop: Header=BB12_7 Depth=2
	s_or_b64 exec, exec, s[2:3]
	v_add_u32_e32 v2, 8, v2
	v_cmp_ge_i32_e32 vcc, v2, v1
	s_or_b64 s[30:31], vcc, s[30:31]
	s_andn2_b64 exec, exec, s[30:31]
	s_cbranch_execz .LBB12_2
.LBB12_7:                               ;   Parent Loop BB12_3 Depth=1
                                        ; =>  This Loop Header: Depth=2
                                        ;       Child Loop BB12_10 Depth 3
	v_ashrrev_i32_e32 v3, 31, v2
	v_lshlrev_b64 v[6:7], 2, v[2:3]
	v_lshl_add_u64 v[4:5], s[24:25], 0, v[6:7]
	global_load_dword v4, v[4:5], off
	v_lshl_add_u64 v[6:7], s[26:27], 0, v[6:7]
	s_waitcnt vmcnt(0)
	v_subrev_u32_e32 v4, s38, v4
	v_ashrrev_i32_e32 v5, 31, v4
	v_lshlrev_b64 v[8:9], 2, v[4:5]
	v_lshl_add_u64 v[14:15], s[14:15], 0, v[8:9]
	global_load_dword v5, v[14:15], off
	v_mov_b32_e32 v15, 0
	global_load_dword v14, v[6:7], off
	v_lshl_add_u64 v[6:7], s[4:5], 0, v[8:9]
	v_lshl_add_u64 v[8:9], s[18:19], 0, v[8:9]
	global_load_dword v6, v[6:7], off
	s_waitcnt vmcnt(2)
	v_subrev_u32_e32 v16, s38, v5
	global_load_dword v7, v[8:9], off
	v_ashrrev_i32_e32 v17, 31, v16
	v_lshl_add_u64 v[8:9], v[16:17], 2, s[10:11]
	global_load_dword v5, v[8:9], off
	s_waitcnt vmcnt(1)
	v_cmp_lt_i32_e32 vcc, v7, v6
	s_and_b64 s[2:3], s[0:1], vcc
	s_and_saveexec_b64 s[34:35], s[2:3]
	s_cbranch_execz .LBB12_13
; %bb.8:                                ;   in Loop: Header=BB12_7 Depth=2
	v_subrev_u32_e32 v16, s38, v6
	v_subrev_u32_e32 v6, s38, v7
	v_mov_b32_e32 v15, 0
	s_mov_b64 s[36:37], 0
	v_mov_b32_e32 v8, v13
	s_branch .LBB12_10
.LBB12_9:                               ;   in Loop: Header=BB12_10 Depth=3
	s_or_b64 exec, exec, s[2:3]
	v_cmp_le_i32_e32 vcc, v17, v18
	s_nop 1
	v_addc_co_u32_e32 v8, vcc, 0, v8, vcc
	v_cmp_ge_i32_e32 vcc, v17, v18
	s_nop 1
	v_addc_co_u32_e32 v6, vcc, 0, v6, vcc
	v_cmp_ge_i32_e32 vcc, v8, v12
	v_cmp_ge_i32_e64 s[2:3], v6, v16
	s_or_b64 s[2:3], vcc, s[2:3]
	s_and_b64 s[2:3], exec, s[2:3]
	s_or_b64 s[36:37], s[2:3], s[36:37]
	s_andn2_b64 exec, exec, s[36:37]
	s_cbranch_execz .LBB12_12
.LBB12_10:                              ;   Parent Loop BB12_3 Depth=1
                                        ;     Parent Loop BB12_7 Depth=2
                                        ; =>    This Inner Loop Header: Depth=3
	v_ashrrev_i32_e32 v9, 31, v8
	v_lshl_add_u64 v[18:19], v[8:9], 2, s[16:17]
	v_ashrrev_i32_e32 v7, 31, v6
	global_load_dword v17, v[18:19], off
	v_lshl_add_u64 v[18:19], v[6:7], 2, s[6:7]
	global_load_dword v18, v[18:19], off
	s_waitcnt vmcnt(0)
	v_cmp_eq_u32_e32 vcc, v17, v18
	s_and_saveexec_b64 s[2:3], vcc
	s_cbranch_execz .LBB12_9
; %bb.11:                               ;   in Loop: Header=BB12_10 Depth=3
	v_lshl_add_u64 v[20:21], v[6:7], 2, s[8:9]
	global_load_dword v20, v[20:21], off
	v_lshl_add_u64 v[22:23], v[8:9], 2, s[10:11]
	global_load_dword v7, v[22:23], off
	s_waitcnt vmcnt(1)
	v_ashrrev_i32_e32 v21, 31, v20
	v_lshl_add_u64 v[20:21], v[20:21], 2, s[10:11]
	global_load_dword v9, v[20:21], off
	s_waitcnt vmcnt(0)
	v_fmac_f32_e32 v15, v7, v9
	s_branch .LBB12_9
.LBB12_12:                              ;   in Loop: Header=BB12_7 Depth=2
	s_or_b64 exec, exec, s[36:37]
.LBB12_13:                              ;   in Loop: Header=BB12_7 Depth=2
	s_or_b64 exec, exec, s[34:35]
	v_sub_f32_e32 v6, v14, v15
	s_waitcnt vmcnt(0)
	v_div_scale_f32 v7, s[2:3], v5, v5, v6
	v_rcp_f32_e32 v8, v7
	v_div_scale_f32 v9, vcc, v6, v5, v6
	v_fma_f32 v14, -v7, v8, 1.0
	v_fmac_f32_e32 v8, v14, v8
	v_mul_f32_e32 v14, v9, v8
	v_fma_f32 v15, -v7, v14, v9
	v_fmac_f32_e32 v14, v15, v8
	v_fma_f32 v7, -v7, v14, v9
	v_div_fmas_f32 v7, v7, v8, v14
	v_div_fixup_f32 v5, v7, v5, v6
	v_cmp_gt_i32_e32 vcc, v0, v4
	s_nop 1
	v_cndmask_b32_e32 v4, v6, v5, vcc
	v_cmp_class_f32_e64 s[34:35], v4, s40
	s_and_saveexec_b64 s[2:3], s[34:35]
	s_cbranch_execz .LBB12_6
; %bb.14:                               ;   in Loop: Header=BB12_7 Depth=2
	v_lshl_add_u64 v[6:7], v[2:3], 2, s[10:11]
	global_store_dword v[6:7], v4, off
	s_branch .LBB12_6
.LBB12_15:
	s_endpgm
	.section	.rodata,"a",@progbits
	.p2align	6, 0x0
	.amdhsa_kernel _ZN9rocsparseL16kernel_calculateILi1024ELi8ELb0EfiiEEvT4_T3_PKS2_S4_PKS1_PKT2_21rocsparse_index_base_S4_S4_S6_S4_S4_S6_S4_PS7_PNS_15floating_traitsIS7_E6data_tEPKSE_
		.amdhsa_group_segment_fixed_size 0
		.amdhsa_private_segment_fixed_size 0
		.amdhsa_kernarg_size 128
		.amdhsa_user_sgpr_count 2
		.amdhsa_user_sgpr_dispatch_ptr 0
		.amdhsa_user_sgpr_queue_ptr 0
		.amdhsa_user_sgpr_kernarg_segment_ptr 1
		.amdhsa_user_sgpr_dispatch_id 0
		.amdhsa_user_sgpr_kernarg_preload_length 0
		.amdhsa_user_sgpr_kernarg_preload_offset 0
		.amdhsa_user_sgpr_private_segment_size 0
		.amdhsa_uses_dynamic_stack 0
		.amdhsa_enable_private_segment 0
		.amdhsa_system_sgpr_workgroup_id_x 1
		.amdhsa_system_sgpr_workgroup_id_y 0
		.amdhsa_system_sgpr_workgroup_id_z 0
		.amdhsa_system_sgpr_workgroup_info 0
		.amdhsa_system_vgpr_workitem_id 0
		.amdhsa_next_free_vgpr 24
		.amdhsa_next_free_sgpr 41
		.amdhsa_accum_offset 24
		.amdhsa_reserve_vcc 1
		.amdhsa_float_round_mode_32 0
		.amdhsa_float_round_mode_16_64 0
		.amdhsa_float_denorm_mode_32 3
		.amdhsa_float_denorm_mode_16_64 3
		.amdhsa_dx10_clamp 1
		.amdhsa_ieee_mode 1
		.amdhsa_fp16_overflow 0
		.amdhsa_tg_split 0
		.amdhsa_exception_fp_ieee_invalid_op 0
		.amdhsa_exception_fp_denorm_src 0
		.amdhsa_exception_fp_ieee_div_zero 0
		.amdhsa_exception_fp_ieee_overflow 0
		.amdhsa_exception_fp_ieee_underflow 0
		.amdhsa_exception_fp_ieee_inexact 0
		.amdhsa_exception_int_div_zero 0
	.end_amdhsa_kernel
	.section	.text._ZN9rocsparseL16kernel_calculateILi1024ELi8ELb0EfiiEEvT4_T3_PKS2_S4_PKS1_PKT2_21rocsparse_index_base_S4_S4_S6_S4_S4_S6_S4_PS7_PNS_15floating_traitsIS7_E6data_tEPKSE_,"axG",@progbits,_ZN9rocsparseL16kernel_calculateILi1024ELi8ELb0EfiiEEvT4_T3_PKS2_S4_PKS1_PKT2_21rocsparse_index_base_S4_S4_S6_S4_S4_S6_S4_PS7_PNS_15floating_traitsIS7_E6data_tEPKSE_,comdat
.Lfunc_end12:
	.size	_ZN9rocsparseL16kernel_calculateILi1024ELi8ELb0EfiiEEvT4_T3_PKS2_S4_PKS1_PKT2_21rocsparse_index_base_S4_S4_S6_S4_S4_S6_S4_PS7_PNS_15floating_traitsIS7_E6data_tEPKSE_, .Lfunc_end12-_ZN9rocsparseL16kernel_calculateILi1024ELi8ELb0EfiiEEvT4_T3_PKS2_S4_PKS1_PKT2_21rocsparse_index_base_S4_S4_S6_S4_S4_S6_S4_PS7_PNS_15floating_traitsIS7_E6data_tEPKSE_
                                        ; -- End function
	.set _ZN9rocsparseL16kernel_calculateILi1024ELi8ELb0EfiiEEvT4_T3_PKS2_S4_PKS1_PKT2_21rocsparse_index_base_S4_S4_S6_S4_S4_S6_S4_PS7_PNS_15floating_traitsIS7_E6data_tEPKSE_.num_vgpr, 24
	.set _ZN9rocsparseL16kernel_calculateILi1024ELi8ELb0EfiiEEvT4_T3_PKS2_S4_PKS1_PKT2_21rocsparse_index_base_S4_S4_S6_S4_S4_S6_S4_PS7_PNS_15floating_traitsIS7_E6data_tEPKSE_.num_agpr, 0
	.set _ZN9rocsparseL16kernel_calculateILi1024ELi8ELb0EfiiEEvT4_T3_PKS2_S4_PKS1_PKT2_21rocsparse_index_base_S4_S4_S6_S4_S4_S6_S4_PS7_PNS_15floating_traitsIS7_E6data_tEPKSE_.numbered_sgpr, 41
	.set _ZN9rocsparseL16kernel_calculateILi1024ELi8ELb0EfiiEEvT4_T3_PKS2_S4_PKS1_PKT2_21rocsparse_index_base_S4_S4_S6_S4_S4_S6_S4_PS7_PNS_15floating_traitsIS7_E6data_tEPKSE_.num_named_barrier, 0
	.set _ZN9rocsparseL16kernel_calculateILi1024ELi8ELb0EfiiEEvT4_T3_PKS2_S4_PKS1_PKT2_21rocsparse_index_base_S4_S4_S6_S4_S4_S6_S4_PS7_PNS_15floating_traitsIS7_E6data_tEPKSE_.private_seg_size, 0
	.set _ZN9rocsparseL16kernel_calculateILi1024ELi8ELb0EfiiEEvT4_T3_PKS2_S4_PKS1_PKT2_21rocsparse_index_base_S4_S4_S6_S4_S4_S6_S4_PS7_PNS_15floating_traitsIS7_E6data_tEPKSE_.uses_vcc, 1
	.set _ZN9rocsparseL16kernel_calculateILi1024ELi8ELb0EfiiEEvT4_T3_PKS2_S4_PKS1_PKT2_21rocsparse_index_base_S4_S4_S6_S4_S4_S6_S4_PS7_PNS_15floating_traitsIS7_E6data_tEPKSE_.uses_flat_scratch, 0
	.set _ZN9rocsparseL16kernel_calculateILi1024ELi8ELb0EfiiEEvT4_T3_PKS2_S4_PKS1_PKT2_21rocsparse_index_base_S4_S4_S6_S4_S4_S6_S4_PS7_PNS_15floating_traitsIS7_E6data_tEPKSE_.has_dyn_sized_stack, 0
	.set _ZN9rocsparseL16kernel_calculateILi1024ELi8ELb0EfiiEEvT4_T3_PKS2_S4_PKS1_PKT2_21rocsparse_index_base_S4_S4_S6_S4_S4_S6_S4_PS7_PNS_15floating_traitsIS7_E6data_tEPKSE_.has_recursion, 0
	.set _ZN9rocsparseL16kernel_calculateILi1024ELi8ELb0EfiiEEvT4_T3_PKS2_S4_PKS1_PKT2_21rocsparse_index_base_S4_S4_S6_S4_S4_S6_S4_PS7_PNS_15floating_traitsIS7_E6data_tEPKSE_.has_indirect_call, 0
	.section	.AMDGPU.csdata,"",@progbits
; Kernel info:
; codeLenInByte = 800
; TotalNumSgprs: 47
; NumVgprs: 24
; NumAgprs: 0
; TotalNumVgprs: 24
; ScratchSize: 0
; MemoryBound: 0
; FloatMode: 240
; IeeeMode: 1
; LDSByteSize: 0 bytes/workgroup (compile time only)
; SGPRBlocks: 5
; VGPRBlocks: 2
; NumSGPRsForWavesPerEU: 47
; NumVGPRsForWavesPerEU: 24
; AccumOffset: 24
; Occupancy: 8
; WaveLimiterHint : 1
; COMPUTE_PGM_RSRC2:SCRATCH_EN: 0
; COMPUTE_PGM_RSRC2:USER_SGPR: 2
; COMPUTE_PGM_RSRC2:TRAP_HANDLER: 0
; COMPUTE_PGM_RSRC2:TGID_X_EN: 1
; COMPUTE_PGM_RSRC2:TGID_Y_EN: 0
; COMPUTE_PGM_RSRC2:TGID_Z_EN: 0
; COMPUTE_PGM_RSRC2:TIDIG_COMP_CNT: 0
; COMPUTE_PGM_RSRC3_GFX90A:ACCUM_OFFSET: 5
; COMPUTE_PGM_RSRC3_GFX90A:TG_SPLIT: 0
	.section	.text._ZN9rocsparseL16kernel_calculateILi1024ELi16ELb0EfiiEEvT4_T3_PKS2_S4_PKS1_PKT2_21rocsparse_index_base_S4_S4_S6_S4_S4_S6_S4_PS7_PNS_15floating_traitsIS7_E6data_tEPKSE_,"axG",@progbits,_ZN9rocsparseL16kernel_calculateILi1024ELi16ELb0EfiiEEvT4_T3_PKS2_S4_PKS1_PKT2_21rocsparse_index_base_S4_S4_S6_S4_S4_S6_S4_PS7_PNS_15floating_traitsIS7_E6data_tEPKSE_,comdat
	.globl	_ZN9rocsparseL16kernel_calculateILi1024ELi16ELb0EfiiEEvT4_T3_PKS2_S4_PKS1_PKT2_21rocsparse_index_base_S4_S4_S6_S4_S4_S6_S4_PS7_PNS_15floating_traitsIS7_E6data_tEPKSE_ ; -- Begin function _ZN9rocsparseL16kernel_calculateILi1024ELi16ELb0EfiiEEvT4_T3_PKS2_S4_PKS1_PKT2_21rocsparse_index_base_S4_S4_S6_S4_S4_S6_S4_PS7_PNS_15floating_traitsIS7_E6data_tEPKSE_
	.p2align	8
	.type	_ZN9rocsparseL16kernel_calculateILi1024ELi16ELb0EfiiEEvT4_T3_PKS2_S4_PKS1_PKT2_21rocsparse_index_base_S4_S4_S6_S4_S4_S6_S4_PS7_PNS_15floating_traitsIS7_E6data_tEPKSE_,@function
_ZN9rocsparseL16kernel_calculateILi1024ELi16ELb0EfiiEEvT4_T3_PKS2_S4_PKS1_PKT2_21rocsparse_index_base_S4_S4_S6_S4_S4_S6_S4_PS7_PNS_15floating_traitsIS7_E6data_tEPKSE_: ; @_ZN9rocsparseL16kernel_calculateILi1024ELi16ELb0EfiiEEvT4_T3_PKS2_S4_PKS1_PKT2_21rocsparse_index_base_S4_S4_S6_S4_S4_S6_S4_PS7_PNS_15floating_traitsIS7_E6data_tEPKSE_
; %bb.0:
	s_load_dword s33, s[0:1], 0x0
	v_lshrrev_b32_e32 v1, 4, v0
	v_lshl_or_b32 v10, s2, 10, v1
	s_waitcnt lgkmcnt(0)
	v_cmp_gt_i32_e32 vcc, s33, v10
	s_and_saveexec_b64 s[2:3], vcc
	s_cbranch_execz .LBB13_15
; %bb.1:
	s_load_dword s38, s[0:1], 0x28
	s_load_dwordx8 s[4:11], s[0:1], 0x50
	s_load_dwordx8 s[12:19], s[0:1], 0x30
	;; [unrolled: 1-line block ×3, first 2 shown]
	v_and_b32_e32 v0, 15, v0
	s_waitcnt lgkmcnt(0)
	v_subrev_u32_e32 v11, s38, v0
	s_mov_b32 s39, 0
	s_movk_i32 s40, 0x1f8
	s_branch .LBB13_3
.LBB13_2:                               ;   in Loop: Header=BB13_3 Depth=1
	s_or_b64 exec, exec, s[28:29]
	s_add_i32 s39, s39, 1
	s_cmp_lg_u32 s39, 16
	s_cbranch_scc0 .LBB13_15
.LBB13_3:                               ; =>This Loop Header: Depth=1
                                        ;     Child Loop BB13_7 Depth 2
                                        ;       Child Loop BB13_10 Depth 3
	v_lshl_add_u32 v0, s39, 6, v10
	v_cmp_gt_i32_e32 vcc, s33, v0
	s_and_saveexec_b64 s[28:29], vcc
	s_cbranch_execz .LBB13_2
; %bb.4:                                ;   in Loop: Header=BB13_3 Depth=1
	v_ashrrev_i32_e32 v1, 31, v0
	v_lshlrev_b64 v[4:5], 2, v[0:1]
	v_lshl_add_u64 v[2:3], s[22:23], 0, v[4:5]
	global_load_dword v1, v[2:3], off
	v_lshl_add_u64 v[2:3], s[20:21], 0, v[4:5]
	global_load_dword v2, v[2:3], off
	s_waitcnt vmcnt(1)
	v_subrev_u32_e32 v1, s38, v1
	s_waitcnt vmcnt(0)
	v_add_u32_e32 v2, v11, v2
	v_cmp_lt_i32_e32 vcc, v2, v1
	s_and_b64 exec, exec, vcc
	s_cbranch_execz .LBB13_2
; %bb.5:                                ;   in Loop: Header=BB13_3 Depth=1
	v_lshl_add_u64 v[6:7], s[14:15], 0, v[4:5]
	v_lshl_add_u64 v[4:5], s[12:13], 0, v[4:5]
	global_load_dword v3, v[6:7], off
	s_mov_b64 s[30:31], 0
	global_load_dword v4, v[4:5], off
	s_waitcnt vmcnt(1)
	v_subrev_u32_e32 v12, s38, v3
	s_waitcnt vmcnt(0)
	v_cmp_lt_i32_e64 s[0:1], v4, v3
	v_subrev_u32_e32 v13, s38, v4
	s_branch .LBB13_7
.LBB13_6:                               ;   in Loop: Header=BB13_7 Depth=2
	s_or_b64 exec, exec, s[2:3]
	v_add_u32_e32 v2, 16, v2
	v_cmp_ge_i32_e32 vcc, v2, v1
	s_or_b64 s[30:31], vcc, s[30:31]
	s_andn2_b64 exec, exec, s[30:31]
	s_cbranch_execz .LBB13_2
.LBB13_7:                               ;   Parent Loop BB13_3 Depth=1
                                        ; =>  This Loop Header: Depth=2
                                        ;       Child Loop BB13_10 Depth 3
	v_ashrrev_i32_e32 v3, 31, v2
	v_lshlrev_b64 v[6:7], 2, v[2:3]
	v_lshl_add_u64 v[4:5], s[24:25], 0, v[6:7]
	global_load_dword v4, v[4:5], off
	v_lshl_add_u64 v[6:7], s[26:27], 0, v[6:7]
	s_waitcnt vmcnt(0)
	v_subrev_u32_e32 v4, s38, v4
	v_ashrrev_i32_e32 v5, 31, v4
	v_lshlrev_b64 v[8:9], 2, v[4:5]
	v_lshl_add_u64 v[14:15], s[14:15], 0, v[8:9]
	global_load_dword v5, v[14:15], off
	v_mov_b32_e32 v15, 0
	global_load_dword v14, v[6:7], off
	v_lshl_add_u64 v[6:7], s[4:5], 0, v[8:9]
	v_lshl_add_u64 v[8:9], s[18:19], 0, v[8:9]
	global_load_dword v6, v[6:7], off
	s_waitcnt vmcnt(2)
	v_subrev_u32_e32 v16, s38, v5
	global_load_dword v7, v[8:9], off
	v_ashrrev_i32_e32 v17, 31, v16
	v_lshl_add_u64 v[8:9], v[16:17], 2, s[10:11]
	global_load_dword v5, v[8:9], off
	s_waitcnt vmcnt(1)
	v_cmp_lt_i32_e32 vcc, v7, v6
	s_and_b64 s[2:3], s[0:1], vcc
	s_and_saveexec_b64 s[34:35], s[2:3]
	s_cbranch_execz .LBB13_13
; %bb.8:                                ;   in Loop: Header=BB13_7 Depth=2
	v_subrev_u32_e32 v16, s38, v6
	v_subrev_u32_e32 v6, s38, v7
	v_mov_b32_e32 v15, 0
	s_mov_b64 s[36:37], 0
	v_mov_b32_e32 v8, v13
	s_branch .LBB13_10
.LBB13_9:                               ;   in Loop: Header=BB13_10 Depth=3
	s_or_b64 exec, exec, s[2:3]
	v_cmp_le_i32_e32 vcc, v17, v18
	s_nop 1
	v_addc_co_u32_e32 v8, vcc, 0, v8, vcc
	v_cmp_ge_i32_e32 vcc, v17, v18
	s_nop 1
	v_addc_co_u32_e32 v6, vcc, 0, v6, vcc
	v_cmp_ge_i32_e32 vcc, v8, v12
	v_cmp_ge_i32_e64 s[2:3], v6, v16
	s_or_b64 s[2:3], vcc, s[2:3]
	s_and_b64 s[2:3], exec, s[2:3]
	s_or_b64 s[36:37], s[2:3], s[36:37]
	s_andn2_b64 exec, exec, s[36:37]
	s_cbranch_execz .LBB13_12
.LBB13_10:                              ;   Parent Loop BB13_3 Depth=1
                                        ;     Parent Loop BB13_7 Depth=2
                                        ; =>    This Inner Loop Header: Depth=3
	v_ashrrev_i32_e32 v9, 31, v8
	v_lshl_add_u64 v[18:19], v[8:9], 2, s[16:17]
	v_ashrrev_i32_e32 v7, 31, v6
	global_load_dword v17, v[18:19], off
	v_lshl_add_u64 v[18:19], v[6:7], 2, s[6:7]
	global_load_dword v18, v[18:19], off
	s_waitcnt vmcnt(0)
	v_cmp_eq_u32_e32 vcc, v17, v18
	s_and_saveexec_b64 s[2:3], vcc
	s_cbranch_execz .LBB13_9
; %bb.11:                               ;   in Loop: Header=BB13_10 Depth=3
	v_lshl_add_u64 v[20:21], v[6:7], 2, s[8:9]
	global_load_dword v20, v[20:21], off
	v_lshl_add_u64 v[22:23], v[8:9], 2, s[10:11]
	global_load_dword v7, v[22:23], off
	s_waitcnt vmcnt(1)
	v_ashrrev_i32_e32 v21, 31, v20
	v_lshl_add_u64 v[20:21], v[20:21], 2, s[10:11]
	global_load_dword v9, v[20:21], off
	s_waitcnt vmcnt(0)
	v_fmac_f32_e32 v15, v7, v9
	s_branch .LBB13_9
.LBB13_12:                              ;   in Loop: Header=BB13_7 Depth=2
	s_or_b64 exec, exec, s[36:37]
.LBB13_13:                              ;   in Loop: Header=BB13_7 Depth=2
	s_or_b64 exec, exec, s[34:35]
	v_sub_f32_e32 v6, v14, v15
	s_waitcnt vmcnt(0)
	v_div_scale_f32 v7, s[2:3], v5, v5, v6
	v_rcp_f32_e32 v8, v7
	v_div_scale_f32 v9, vcc, v6, v5, v6
	v_fma_f32 v14, -v7, v8, 1.0
	v_fmac_f32_e32 v8, v14, v8
	v_mul_f32_e32 v14, v9, v8
	v_fma_f32 v15, -v7, v14, v9
	v_fmac_f32_e32 v14, v15, v8
	v_fma_f32 v7, -v7, v14, v9
	v_div_fmas_f32 v7, v7, v8, v14
	v_div_fixup_f32 v5, v7, v5, v6
	v_cmp_gt_i32_e32 vcc, v0, v4
	s_nop 1
	v_cndmask_b32_e32 v4, v6, v5, vcc
	v_cmp_class_f32_e64 s[34:35], v4, s40
	s_and_saveexec_b64 s[2:3], s[34:35]
	s_cbranch_execz .LBB13_6
; %bb.14:                               ;   in Loop: Header=BB13_7 Depth=2
	v_lshl_add_u64 v[6:7], v[2:3], 2, s[10:11]
	global_store_dword v[6:7], v4, off
	s_branch .LBB13_6
.LBB13_15:
	s_endpgm
	.section	.rodata,"a",@progbits
	.p2align	6, 0x0
	.amdhsa_kernel _ZN9rocsparseL16kernel_calculateILi1024ELi16ELb0EfiiEEvT4_T3_PKS2_S4_PKS1_PKT2_21rocsparse_index_base_S4_S4_S6_S4_S4_S6_S4_PS7_PNS_15floating_traitsIS7_E6data_tEPKSE_
		.amdhsa_group_segment_fixed_size 0
		.amdhsa_private_segment_fixed_size 0
		.amdhsa_kernarg_size 128
		.amdhsa_user_sgpr_count 2
		.amdhsa_user_sgpr_dispatch_ptr 0
		.amdhsa_user_sgpr_queue_ptr 0
		.amdhsa_user_sgpr_kernarg_segment_ptr 1
		.amdhsa_user_sgpr_dispatch_id 0
		.amdhsa_user_sgpr_kernarg_preload_length 0
		.amdhsa_user_sgpr_kernarg_preload_offset 0
		.amdhsa_user_sgpr_private_segment_size 0
		.amdhsa_uses_dynamic_stack 0
		.amdhsa_enable_private_segment 0
		.amdhsa_system_sgpr_workgroup_id_x 1
		.amdhsa_system_sgpr_workgroup_id_y 0
		.amdhsa_system_sgpr_workgroup_id_z 0
		.amdhsa_system_sgpr_workgroup_info 0
		.amdhsa_system_vgpr_workitem_id 0
		.amdhsa_next_free_vgpr 24
		.amdhsa_next_free_sgpr 41
		.amdhsa_accum_offset 24
		.amdhsa_reserve_vcc 1
		.amdhsa_float_round_mode_32 0
		.amdhsa_float_round_mode_16_64 0
		.amdhsa_float_denorm_mode_32 3
		.amdhsa_float_denorm_mode_16_64 3
		.amdhsa_dx10_clamp 1
		.amdhsa_ieee_mode 1
		.amdhsa_fp16_overflow 0
		.amdhsa_tg_split 0
		.amdhsa_exception_fp_ieee_invalid_op 0
		.amdhsa_exception_fp_denorm_src 0
		.amdhsa_exception_fp_ieee_div_zero 0
		.amdhsa_exception_fp_ieee_overflow 0
		.amdhsa_exception_fp_ieee_underflow 0
		.amdhsa_exception_fp_ieee_inexact 0
		.amdhsa_exception_int_div_zero 0
	.end_amdhsa_kernel
	.section	.text._ZN9rocsparseL16kernel_calculateILi1024ELi16ELb0EfiiEEvT4_T3_PKS2_S4_PKS1_PKT2_21rocsparse_index_base_S4_S4_S6_S4_S4_S6_S4_PS7_PNS_15floating_traitsIS7_E6data_tEPKSE_,"axG",@progbits,_ZN9rocsparseL16kernel_calculateILi1024ELi16ELb0EfiiEEvT4_T3_PKS2_S4_PKS1_PKT2_21rocsparse_index_base_S4_S4_S6_S4_S4_S6_S4_PS7_PNS_15floating_traitsIS7_E6data_tEPKSE_,comdat
.Lfunc_end13:
	.size	_ZN9rocsparseL16kernel_calculateILi1024ELi16ELb0EfiiEEvT4_T3_PKS2_S4_PKS1_PKT2_21rocsparse_index_base_S4_S4_S6_S4_S4_S6_S4_PS7_PNS_15floating_traitsIS7_E6data_tEPKSE_, .Lfunc_end13-_ZN9rocsparseL16kernel_calculateILi1024ELi16ELb0EfiiEEvT4_T3_PKS2_S4_PKS1_PKT2_21rocsparse_index_base_S4_S4_S6_S4_S4_S6_S4_PS7_PNS_15floating_traitsIS7_E6data_tEPKSE_
                                        ; -- End function
	.set _ZN9rocsparseL16kernel_calculateILi1024ELi16ELb0EfiiEEvT4_T3_PKS2_S4_PKS1_PKT2_21rocsparse_index_base_S4_S4_S6_S4_S4_S6_S4_PS7_PNS_15floating_traitsIS7_E6data_tEPKSE_.num_vgpr, 24
	.set _ZN9rocsparseL16kernel_calculateILi1024ELi16ELb0EfiiEEvT4_T3_PKS2_S4_PKS1_PKT2_21rocsparse_index_base_S4_S4_S6_S4_S4_S6_S4_PS7_PNS_15floating_traitsIS7_E6data_tEPKSE_.num_agpr, 0
	.set _ZN9rocsparseL16kernel_calculateILi1024ELi16ELb0EfiiEEvT4_T3_PKS2_S4_PKS1_PKT2_21rocsparse_index_base_S4_S4_S6_S4_S4_S6_S4_PS7_PNS_15floating_traitsIS7_E6data_tEPKSE_.numbered_sgpr, 41
	.set _ZN9rocsparseL16kernel_calculateILi1024ELi16ELb0EfiiEEvT4_T3_PKS2_S4_PKS1_PKT2_21rocsparse_index_base_S4_S4_S6_S4_S4_S6_S4_PS7_PNS_15floating_traitsIS7_E6data_tEPKSE_.num_named_barrier, 0
	.set _ZN9rocsparseL16kernel_calculateILi1024ELi16ELb0EfiiEEvT4_T3_PKS2_S4_PKS1_PKT2_21rocsparse_index_base_S4_S4_S6_S4_S4_S6_S4_PS7_PNS_15floating_traitsIS7_E6data_tEPKSE_.private_seg_size, 0
	.set _ZN9rocsparseL16kernel_calculateILi1024ELi16ELb0EfiiEEvT4_T3_PKS2_S4_PKS1_PKT2_21rocsparse_index_base_S4_S4_S6_S4_S4_S6_S4_PS7_PNS_15floating_traitsIS7_E6data_tEPKSE_.uses_vcc, 1
	.set _ZN9rocsparseL16kernel_calculateILi1024ELi16ELb0EfiiEEvT4_T3_PKS2_S4_PKS1_PKT2_21rocsparse_index_base_S4_S4_S6_S4_S4_S6_S4_PS7_PNS_15floating_traitsIS7_E6data_tEPKSE_.uses_flat_scratch, 0
	.set _ZN9rocsparseL16kernel_calculateILi1024ELi16ELb0EfiiEEvT4_T3_PKS2_S4_PKS1_PKT2_21rocsparse_index_base_S4_S4_S6_S4_S4_S6_S4_PS7_PNS_15floating_traitsIS7_E6data_tEPKSE_.has_dyn_sized_stack, 0
	.set _ZN9rocsparseL16kernel_calculateILi1024ELi16ELb0EfiiEEvT4_T3_PKS2_S4_PKS1_PKT2_21rocsparse_index_base_S4_S4_S6_S4_S4_S6_S4_PS7_PNS_15floating_traitsIS7_E6data_tEPKSE_.has_recursion, 0
	.set _ZN9rocsparseL16kernel_calculateILi1024ELi16ELb0EfiiEEvT4_T3_PKS2_S4_PKS1_PKT2_21rocsparse_index_base_S4_S4_S6_S4_S4_S6_S4_PS7_PNS_15floating_traitsIS7_E6data_tEPKSE_.has_indirect_call, 0
	.section	.AMDGPU.csdata,"",@progbits
; Kernel info:
; codeLenInByte = 800
; TotalNumSgprs: 47
; NumVgprs: 24
; NumAgprs: 0
; TotalNumVgprs: 24
; ScratchSize: 0
; MemoryBound: 0
; FloatMode: 240
; IeeeMode: 1
; LDSByteSize: 0 bytes/workgroup (compile time only)
; SGPRBlocks: 5
; VGPRBlocks: 2
; NumSGPRsForWavesPerEU: 47
; NumVGPRsForWavesPerEU: 24
; AccumOffset: 24
; Occupancy: 8
; WaveLimiterHint : 1
; COMPUTE_PGM_RSRC2:SCRATCH_EN: 0
; COMPUTE_PGM_RSRC2:USER_SGPR: 2
; COMPUTE_PGM_RSRC2:TRAP_HANDLER: 0
; COMPUTE_PGM_RSRC2:TGID_X_EN: 1
; COMPUTE_PGM_RSRC2:TGID_Y_EN: 0
; COMPUTE_PGM_RSRC2:TGID_Z_EN: 0
; COMPUTE_PGM_RSRC2:TIDIG_COMP_CNT: 0
; COMPUTE_PGM_RSRC3_GFX90A:ACCUM_OFFSET: 5
; COMPUTE_PGM_RSRC3_GFX90A:TG_SPLIT: 0
	.section	.text._ZN9rocsparseL16kernel_calculateILi1024ELi32ELb0EfiiEEvT4_T3_PKS2_S4_PKS1_PKT2_21rocsparse_index_base_S4_S4_S6_S4_S4_S6_S4_PS7_PNS_15floating_traitsIS7_E6data_tEPKSE_,"axG",@progbits,_ZN9rocsparseL16kernel_calculateILi1024ELi32ELb0EfiiEEvT4_T3_PKS2_S4_PKS1_PKT2_21rocsparse_index_base_S4_S4_S6_S4_S4_S6_S4_PS7_PNS_15floating_traitsIS7_E6data_tEPKSE_,comdat
	.globl	_ZN9rocsparseL16kernel_calculateILi1024ELi32ELb0EfiiEEvT4_T3_PKS2_S4_PKS1_PKT2_21rocsparse_index_base_S4_S4_S6_S4_S4_S6_S4_PS7_PNS_15floating_traitsIS7_E6data_tEPKSE_ ; -- Begin function _ZN9rocsparseL16kernel_calculateILi1024ELi32ELb0EfiiEEvT4_T3_PKS2_S4_PKS1_PKT2_21rocsparse_index_base_S4_S4_S6_S4_S4_S6_S4_PS7_PNS_15floating_traitsIS7_E6data_tEPKSE_
	.p2align	8
	.type	_ZN9rocsparseL16kernel_calculateILi1024ELi32ELb0EfiiEEvT4_T3_PKS2_S4_PKS1_PKT2_21rocsparse_index_base_S4_S4_S6_S4_S4_S6_S4_PS7_PNS_15floating_traitsIS7_E6data_tEPKSE_,@function
_ZN9rocsparseL16kernel_calculateILi1024ELi32ELb0EfiiEEvT4_T3_PKS2_S4_PKS1_PKT2_21rocsparse_index_base_S4_S4_S6_S4_S4_S6_S4_PS7_PNS_15floating_traitsIS7_E6data_tEPKSE_: ; @_ZN9rocsparseL16kernel_calculateILi1024ELi32ELb0EfiiEEvT4_T3_PKS2_S4_PKS1_PKT2_21rocsparse_index_base_S4_S4_S6_S4_S4_S6_S4_PS7_PNS_15floating_traitsIS7_E6data_tEPKSE_
; %bb.0:
	s_load_dword s33, s[0:1], 0x0
	v_lshrrev_b32_e32 v1, 5, v0
	v_lshl_or_b32 v10, s2, 10, v1
	s_waitcnt lgkmcnt(0)
	v_cmp_gt_i32_e32 vcc, s33, v10
	s_and_saveexec_b64 s[2:3], vcc
	s_cbranch_execz .LBB14_15
; %bb.1:
	s_load_dword s38, s[0:1], 0x28
	s_load_dwordx8 s[4:11], s[0:1], 0x50
	s_load_dwordx8 s[12:19], s[0:1], 0x30
	;; [unrolled: 1-line block ×3, first 2 shown]
	v_and_b32_e32 v0, 31, v0
	s_waitcnt lgkmcnt(0)
	v_subrev_u32_e32 v11, s38, v0
	s_mov_b32 s39, 0
	s_movk_i32 s40, 0x1f8
	s_branch .LBB14_3
.LBB14_2:                               ;   in Loop: Header=BB14_3 Depth=1
	s_or_b64 exec, exec, s[28:29]
	s_add_i32 s39, s39, 1
	s_cmp_lg_u32 s39, 32
	s_cbranch_scc0 .LBB14_15
.LBB14_3:                               ; =>This Loop Header: Depth=1
                                        ;     Child Loop BB14_7 Depth 2
                                        ;       Child Loop BB14_10 Depth 3
	v_lshl_add_u32 v0, s39, 5, v10
	v_cmp_gt_i32_e32 vcc, s33, v0
	s_and_saveexec_b64 s[28:29], vcc
	s_cbranch_execz .LBB14_2
; %bb.4:                                ;   in Loop: Header=BB14_3 Depth=1
	v_ashrrev_i32_e32 v1, 31, v0
	v_lshlrev_b64 v[4:5], 2, v[0:1]
	v_lshl_add_u64 v[2:3], s[22:23], 0, v[4:5]
	global_load_dword v1, v[2:3], off
	v_lshl_add_u64 v[2:3], s[20:21], 0, v[4:5]
	global_load_dword v2, v[2:3], off
	s_waitcnt vmcnt(1)
	v_subrev_u32_e32 v1, s38, v1
	s_waitcnt vmcnt(0)
	v_add_u32_e32 v2, v11, v2
	v_cmp_lt_i32_e32 vcc, v2, v1
	s_and_b64 exec, exec, vcc
	s_cbranch_execz .LBB14_2
; %bb.5:                                ;   in Loop: Header=BB14_3 Depth=1
	v_lshl_add_u64 v[6:7], s[14:15], 0, v[4:5]
	v_lshl_add_u64 v[4:5], s[12:13], 0, v[4:5]
	global_load_dword v3, v[6:7], off
	s_mov_b64 s[30:31], 0
	global_load_dword v4, v[4:5], off
	s_waitcnt vmcnt(1)
	v_subrev_u32_e32 v12, s38, v3
	s_waitcnt vmcnt(0)
	v_cmp_lt_i32_e64 s[0:1], v4, v3
	v_subrev_u32_e32 v13, s38, v4
	s_branch .LBB14_7
.LBB14_6:                               ;   in Loop: Header=BB14_7 Depth=2
	s_or_b64 exec, exec, s[2:3]
	v_add_u32_e32 v2, 32, v2
	v_cmp_ge_i32_e32 vcc, v2, v1
	s_or_b64 s[30:31], vcc, s[30:31]
	s_andn2_b64 exec, exec, s[30:31]
	s_cbranch_execz .LBB14_2
.LBB14_7:                               ;   Parent Loop BB14_3 Depth=1
                                        ; =>  This Loop Header: Depth=2
                                        ;       Child Loop BB14_10 Depth 3
	v_ashrrev_i32_e32 v3, 31, v2
	v_lshlrev_b64 v[6:7], 2, v[2:3]
	v_lshl_add_u64 v[4:5], s[24:25], 0, v[6:7]
	global_load_dword v4, v[4:5], off
	v_lshl_add_u64 v[6:7], s[26:27], 0, v[6:7]
	s_waitcnt vmcnt(0)
	v_subrev_u32_e32 v4, s38, v4
	v_ashrrev_i32_e32 v5, 31, v4
	v_lshlrev_b64 v[8:9], 2, v[4:5]
	v_lshl_add_u64 v[14:15], s[14:15], 0, v[8:9]
	global_load_dword v5, v[14:15], off
	v_mov_b32_e32 v15, 0
	global_load_dword v14, v[6:7], off
	v_lshl_add_u64 v[6:7], s[4:5], 0, v[8:9]
	v_lshl_add_u64 v[8:9], s[18:19], 0, v[8:9]
	global_load_dword v6, v[6:7], off
	s_waitcnt vmcnt(2)
	v_subrev_u32_e32 v16, s38, v5
	global_load_dword v7, v[8:9], off
	v_ashrrev_i32_e32 v17, 31, v16
	v_lshl_add_u64 v[8:9], v[16:17], 2, s[10:11]
	global_load_dword v5, v[8:9], off
	s_waitcnt vmcnt(1)
	v_cmp_lt_i32_e32 vcc, v7, v6
	s_and_b64 s[2:3], s[0:1], vcc
	s_and_saveexec_b64 s[34:35], s[2:3]
	s_cbranch_execz .LBB14_13
; %bb.8:                                ;   in Loop: Header=BB14_7 Depth=2
	v_subrev_u32_e32 v16, s38, v6
	v_subrev_u32_e32 v6, s38, v7
	v_mov_b32_e32 v15, 0
	s_mov_b64 s[36:37], 0
	v_mov_b32_e32 v8, v13
	s_branch .LBB14_10
.LBB14_9:                               ;   in Loop: Header=BB14_10 Depth=3
	s_or_b64 exec, exec, s[2:3]
	v_cmp_le_i32_e32 vcc, v17, v18
	s_nop 1
	v_addc_co_u32_e32 v8, vcc, 0, v8, vcc
	v_cmp_ge_i32_e32 vcc, v17, v18
	s_nop 1
	v_addc_co_u32_e32 v6, vcc, 0, v6, vcc
	v_cmp_ge_i32_e32 vcc, v8, v12
	v_cmp_ge_i32_e64 s[2:3], v6, v16
	s_or_b64 s[2:3], vcc, s[2:3]
	s_and_b64 s[2:3], exec, s[2:3]
	s_or_b64 s[36:37], s[2:3], s[36:37]
	s_andn2_b64 exec, exec, s[36:37]
	s_cbranch_execz .LBB14_12
.LBB14_10:                              ;   Parent Loop BB14_3 Depth=1
                                        ;     Parent Loop BB14_7 Depth=2
                                        ; =>    This Inner Loop Header: Depth=3
	v_ashrrev_i32_e32 v9, 31, v8
	v_lshl_add_u64 v[18:19], v[8:9], 2, s[16:17]
	v_ashrrev_i32_e32 v7, 31, v6
	global_load_dword v17, v[18:19], off
	v_lshl_add_u64 v[18:19], v[6:7], 2, s[6:7]
	global_load_dword v18, v[18:19], off
	s_waitcnt vmcnt(0)
	v_cmp_eq_u32_e32 vcc, v17, v18
	s_and_saveexec_b64 s[2:3], vcc
	s_cbranch_execz .LBB14_9
; %bb.11:                               ;   in Loop: Header=BB14_10 Depth=3
	v_lshl_add_u64 v[20:21], v[6:7], 2, s[8:9]
	global_load_dword v20, v[20:21], off
	v_lshl_add_u64 v[22:23], v[8:9], 2, s[10:11]
	global_load_dword v7, v[22:23], off
	s_waitcnt vmcnt(1)
	v_ashrrev_i32_e32 v21, 31, v20
	v_lshl_add_u64 v[20:21], v[20:21], 2, s[10:11]
	global_load_dword v9, v[20:21], off
	s_waitcnt vmcnt(0)
	v_fmac_f32_e32 v15, v7, v9
	s_branch .LBB14_9
.LBB14_12:                              ;   in Loop: Header=BB14_7 Depth=2
	s_or_b64 exec, exec, s[36:37]
.LBB14_13:                              ;   in Loop: Header=BB14_7 Depth=2
	s_or_b64 exec, exec, s[34:35]
	v_sub_f32_e32 v6, v14, v15
	s_waitcnt vmcnt(0)
	v_div_scale_f32 v7, s[2:3], v5, v5, v6
	v_rcp_f32_e32 v8, v7
	v_div_scale_f32 v9, vcc, v6, v5, v6
	v_fma_f32 v14, -v7, v8, 1.0
	v_fmac_f32_e32 v8, v14, v8
	v_mul_f32_e32 v14, v9, v8
	v_fma_f32 v15, -v7, v14, v9
	v_fmac_f32_e32 v14, v15, v8
	v_fma_f32 v7, -v7, v14, v9
	v_div_fmas_f32 v7, v7, v8, v14
	v_div_fixup_f32 v5, v7, v5, v6
	v_cmp_gt_i32_e32 vcc, v0, v4
	s_nop 1
	v_cndmask_b32_e32 v4, v6, v5, vcc
	v_cmp_class_f32_e64 s[34:35], v4, s40
	s_and_saveexec_b64 s[2:3], s[34:35]
	s_cbranch_execz .LBB14_6
; %bb.14:                               ;   in Loop: Header=BB14_7 Depth=2
	v_lshl_add_u64 v[6:7], v[2:3], 2, s[10:11]
	global_store_dword v[6:7], v4, off
	s_branch .LBB14_6
.LBB14_15:
	s_endpgm
	.section	.rodata,"a",@progbits
	.p2align	6, 0x0
	.amdhsa_kernel _ZN9rocsparseL16kernel_calculateILi1024ELi32ELb0EfiiEEvT4_T3_PKS2_S4_PKS1_PKT2_21rocsparse_index_base_S4_S4_S6_S4_S4_S6_S4_PS7_PNS_15floating_traitsIS7_E6data_tEPKSE_
		.amdhsa_group_segment_fixed_size 0
		.amdhsa_private_segment_fixed_size 0
		.amdhsa_kernarg_size 128
		.amdhsa_user_sgpr_count 2
		.amdhsa_user_sgpr_dispatch_ptr 0
		.amdhsa_user_sgpr_queue_ptr 0
		.amdhsa_user_sgpr_kernarg_segment_ptr 1
		.amdhsa_user_sgpr_dispatch_id 0
		.amdhsa_user_sgpr_kernarg_preload_length 0
		.amdhsa_user_sgpr_kernarg_preload_offset 0
		.amdhsa_user_sgpr_private_segment_size 0
		.amdhsa_uses_dynamic_stack 0
		.amdhsa_enable_private_segment 0
		.amdhsa_system_sgpr_workgroup_id_x 1
		.amdhsa_system_sgpr_workgroup_id_y 0
		.amdhsa_system_sgpr_workgroup_id_z 0
		.amdhsa_system_sgpr_workgroup_info 0
		.amdhsa_system_vgpr_workitem_id 0
		.amdhsa_next_free_vgpr 24
		.amdhsa_next_free_sgpr 41
		.amdhsa_accum_offset 24
		.amdhsa_reserve_vcc 1
		.amdhsa_float_round_mode_32 0
		.amdhsa_float_round_mode_16_64 0
		.amdhsa_float_denorm_mode_32 3
		.amdhsa_float_denorm_mode_16_64 3
		.amdhsa_dx10_clamp 1
		.amdhsa_ieee_mode 1
		.amdhsa_fp16_overflow 0
		.amdhsa_tg_split 0
		.amdhsa_exception_fp_ieee_invalid_op 0
		.amdhsa_exception_fp_denorm_src 0
		.amdhsa_exception_fp_ieee_div_zero 0
		.amdhsa_exception_fp_ieee_overflow 0
		.amdhsa_exception_fp_ieee_underflow 0
		.amdhsa_exception_fp_ieee_inexact 0
		.amdhsa_exception_int_div_zero 0
	.end_amdhsa_kernel
	.section	.text._ZN9rocsparseL16kernel_calculateILi1024ELi32ELb0EfiiEEvT4_T3_PKS2_S4_PKS1_PKT2_21rocsparse_index_base_S4_S4_S6_S4_S4_S6_S4_PS7_PNS_15floating_traitsIS7_E6data_tEPKSE_,"axG",@progbits,_ZN9rocsparseL16kernel_calculateILi1024ELi32ELb0EfiiEEvT4_T3_PKS2_S4_PKS1_PKT2_21rocsparse_index_base_S4_S4_S6_S4_S4_S6_S4_PS7_PNS_15floating_traitsIS7_E6data_tEPKSE_,comdat
.Lfunc_end14:
	.size	_ZN9rocsparseL16kernel_calculateILi1024ELi32ELb0EfiiEEvT4_T3_PKS2_S4_PKS1_PKT2_21rocsparse_index_base_S4_S4_S6_S4_S4_S6_S4_PS7_PNS_15floating_traitsIS7_E6data_tEPKSE_, .Lfunc_end14-_ZN9rocsparseL16kernel_calculateILi1024ELi32ELb0EfiiEEvT4_T3_PKS2_S4_PKS1_PKT2_21rocsparse_index_base_S4_S4_S6_S4_S4_S6_S4_PS7_PNS_15floating_traitsIS7_E6data_tEPKSE_
                                        ; -- End function
	.set _ZN9rocsparseL16kernel_calculateILi1024ELi32ELb0EfiiEEvT4_T3_PKS2_S4_PKS1_PKT2_21rocsparse_index_base_S4_S4_S6_S4_S4_S6_S4_PS7_PNS_15floating_traitsIS7_E6data_tEPKSE_.num_vgpr, 24
	.set _ZN9rocsparseL16kernel_calculateILi1024ELi32ELb0EfiiEEvT4_T3_PKS2_S4_PKS1_PKT2_21rocsparse_index_base_S4_S4_S6_S4_S4_S6_S4_PS7_PNS_15floating_traitsIS7_E6data_tEPKSE_.num_agpr, 0
	.set _ZN9rocsparseL16kernel_calculateILi1024ELi32ELb0EfiiEEvT4_T3_PKS2_S4_PKS1_PKT2_21rocsparse_index_base_S4_S4_S6_S4_S4_S6_S4_PS7_PNS_15floating_traitsIS7_E6data_tEPKSE_.numbered_sgpr, 41
	.set _ZN9rocsparseL16kernel_calculateILi1024ELi32ELb0EfiiEEvT4_T3_PKS2_S4_PKS1_PKT2_21rocsparse_index_base_S4_S4_S6_S4_S4_S6_S4_PS7_PNS_15floating_traitsIS7_E6data_tEPKSE_.num_named_barrier, 0
	.set _ZN9rocsparseL16kernel_calculateILi1024ELi32ELb0EfiiEEvT4_T3_PKS2_S4_PKS1_PKT2_21rocsparse_index_base_S4_S4_S6_S4_S4_S6_S4_PS7_PNS_15floating_traitsIS7_E6data_tEPKSE_.private_seg_size, 0
	.set _ZN9rocsparseL16kernel_calculateILi1024ELi32ELb0EfiiEEvT4_T3_PKS2_S4_PKS1_PKT2_21rocsparse_index_base_S4_S4_S6_S4_S4_S6_S4_PS7_PNS_15floating_traitsIS7_E6data_tEPKSE_.uses_vcc, 1
	.set _ZN9rocsparseL16kernel_calculateILi1024ELi32ELb0EfiiEEvT4_T3_PKS2_S4_PKS1_PKT2_21rocsparse_index_base_S4_S4_S6_S4_S4_S6_S4_PS7_PNS_15floating_traitsIS7_E6data_tEPKSE_.uses_flat_scratch, 0
	.set _ZN9rocsparseL16kernel_calculateILi1024ELi32ELb0EfiiEEvT4_T3_PKS2_S4_PKS1_PKT2_21rocsparse_index_base_S4_S4_S6_S4_S4_S6_S4_PS7_PNS_15floating_traitsIS7_E6data_tEPKSE_.has_dyn_sized_stack, 0
	.set _ZN9rocsparseL16kernel_calculateILi1024ELi32ELb0EfiiEEvT4_T3_PKS2_S4_PKS1_PKT2_21rocsparse_index_base_S4_S4_S6_S4_S4_S6_S4_PS7_PNS_15floating_traitsIS7_E6data_tEPKSE_.has_recursion, 0
	.set _ZN9rocsparseL16kernel_calculateILi1024ELi32ELb0EfiiEEvT4_T3_PKS2_S4_PKS1_PKT2_21rocsparse_index_base_S4_S4_S6_S4_S4_S6_S4_PS7_PNS_15floating_traitsIS7_E6data_tEPKSE_.has_indirect_call, 0
	.section	.AMDGPU.csdata,"",@progbits
; Kernel info:
; codeLenInByte = 800
; TotalNumSgprs: 47
; NumVgprs: 24
; NumAgprs: 0
; TotalNumVgprs: 24
; ScratchSize: 0
; MemoryBound: 0
; FloatMode: 240
; IeeeMode: 1
; LDSByteSize: 0 bytes/workgroup (compile time only)
; SGPRBlocks: 5
; VGPRBlocks: 2
; NumSGPRsForWavesPerEU: 47
; NumVGPRsForWavesPerEU: 24
; AccumOffset: 24
; Occupancy: 8
; WaveLimiterHint : 1
; COMPUTE_PGM_RSRC2:SCRATCH_EN: 0
; COMPUTE_PGM_RSRC2:USER_SGPR: 2
; COMPUTE_PGM_RSRC2:TRAP_HANDLER: 0
; COMPUTE_PGM_RSRC2:TGID_X_EN: 1
; COMPUTE_PGM_RSRC2:TGID_Y_EN: 0
; COMPUTE_PGM_RSRC2:TGID_Z_EN: 0
; COMPUTE_PGM_RSRC2:TIDIG_COMP_CNT: 0
; COMPUTE_PGM_RSRC3_GFX90A:ACCUM_OFFSET: 5
; COMPUTE_PGM_RSRC3_GFX90A:TG_SPLIT: 0
	.section	.text._ZN9rocsparseL16kernel_calculateILi1024ELi64ELb0EfiiEEvT4_T3_PKS2_S4_PKS1_PKT2_21rocsparse_index_base_S4_S4_S6_S4_S4_S6_S4_PS7_PNS_15floating_traitsIS7_E6data_tEPKSE_,"axG",@progbits,_ZN9rocsparseL16kernel_calculateILi1024ELi64ELb0EfiiEEvT4_T3_PKS2_S4_PKS1_PKT2_21rocsparse_index_base_S4_S4_S6_S4_S4_S6_S4_PS7_PNS_15floating_traitsIS7_E6data_tEPKSE_,comdat
	.globl	_ZN9rocsparseL16kernel_calculateILi1024ELi64ELb0EfiiEEvT4_T3_PKS2_S4_PKS1_PKT2_21rocsparse_index_base_S4_S4_S6_S4_S4_S6_S4_PS7_PNS_15floating_traitsIS7_E6data_tEPKSE_ ; -- Begin function _ZN9rocsparseL16kernel_calculateILi1024ELi64ELb0EfiiEEvT4_T3_PKS2_S4_PKS1_PKT2_21rocsparse_index_base_S4_S4_S6_S4_S4_S6_S4_PS7_PNS_15floating_traitsIS7_E6data_tEPKSE_
	.p2align	8
	.type	_ZN9rocsparseL16kernel_calculateILi1024ELi64ELb0EfiiEEvT4_T3_PKS2_S4_PKS1_PKT2_21rocsparse_index_base_S4_S4_S6_S4_S4_S6_S4_PS7_PNS_15floating_traitsIS7_E6data_tEPKSE_,@function
_ZN9rocsparseL16kernel_calculateILi1024ELi64ELb0EfiiEEvT4_T3_PKS2_S4_PKS1_PKT2_21rocsparse_index_base_S4_S4_S6_S4_S4_S6_S4_PS7_PNS_15floating_traitsIS7_E6data_tEPKSE_: ; @_ZN9rocsparseL16kernel_calculateILi1024ELi64ELb0EfiiEEvT4_T3_PKS2_S4_PKS1_PKT2_21rocsparse_index_base_S4_S4_S6_S4_S4_S6_S4_PS7_PNS_15floating_traitsIS7_E6data_tEPKSE_
; %bb.0:
	s_load_dword s33, s[0:1], 0x0
	v_lshrrev_b32_e32 v1, 6, v0
	v_lshl_or_b32 v10, s2, 10, v1
	s_waitcnt lgkmcnt(0)
	v_cmp_gt_i32_e32 vcc, s33, v10
	s_and_saveexec_b64 s[2:3], vcc
	s_cbranch_execz .LBB15_15
; %bb.1:
	s_load_dword s38, s[0:1], 0x28
	s_load_dwordx8 s[4:11], s[0:1], 0x50
	s_load_dwordx8 s[12:19], s[0:1], 0x30
	;; [unrolled: 1-line block ×3, first 2 shown]
	v_and_b32_e32 v0, 63, v0
	s_waitcnt lgkmcnt(0)
	v_subrev_u32_e32 v11, s38, v0
	s_mov_b32 s39, 0
	s_movk_i32 s40, 0x1f8
	s_branch .LBB15_3
.LBB15_2:                               ;   in Loop: Header=BB15_3 Depth=1
	s_or_b64 exec, exec, s[28:29]
	s_add_i32 s39, s39, 1
	s_cmp_lg_u32 s39, 64
	s_cbranch_scc0 .LBB15_15
.LBB15_3:                               ; =>This Loop Header: Depth=1
                                        ;     Child Loop BB15_7 Depth 2
                                        ;       Child Loop BB15_10 Depth 3
	v_lshl_add_u32 v0, s39, 4, v10
	v_cmp_gt_i32_e32 vcc, s33, v0
	s_and_saveexec_b64 s[28:29], vcc
	s_cbranch_execz .LBB15_2
; %bb.4:                                ;   in Loop: Header=BB15_3 Depth=1
	v_ashrrev_i32_e32 v1, 31, v0
	v_lshlrev_b64 v[4:5], 2, v[0:1]
	v_lshl_add_u64 v[2:3], s[22:23], 0, v[4:5]
	global_load_dword v1, v[2:3], off
	v_lshl_add_u64 v[2:3], s[20:21], 0, v[4:5]
	global_load_dword v2, v[2:3], off
	s_waitcnt vmcnt(1)
	v_subrev_u32_e32 v1, s38, v1
	s_waitcnt vmcnt(0)
	v_add_u32_e32 v2, v11, v2
	v_cmp_lt_i32_e32 vcc, v2, v1
	s_and_b64 exec, exec, vcc
	s_cbranch_execz .LBB15_2
; %bb.5:                                ;   in Loop: Header=BB15_3 Depth=1
	v_lshl_add_u64 v[6:7], s[14:15], 0, v[4:5]
	v_lshl_add_u64 v[4:5], s[12:13], 0, v[4:5]
	global_load_dword v3, v[6:7], off
	s_mov_b64 s[30:31], 0
	global_load_dword v4, v[4:5], off
	s_waitcnt vmcnt(1)
	v_subrev_u32_e32 v12, s38, v3
	s_waitcnt vmcnt(0)
	v_cmp_lt_i32_e64 s[0:1], v4, v3
	v_subrev_u32_e32 v13, s38, v4
	s_branch .LBB15_7
.LBB15_6:                               ;   in Loop: Header=BB15_7 Depth=2
	s_or_b64 exec, exec, s[2:3]
	v_add_u32_e32 v2, 64, v2
	v_cmp_ge_i32_e32 vcc, v2, v1
	s_or_b64 s[30:31], vcc, s[30:31]
	s_andn2_b64 exec, exec, s[30:31]
	s_cbranch_execz .LBB15_2
.LBB15_7:                               ;   Parent Loop BB15_3 Depth=1
                                        ; =>  This Loop Header: Depth=2
                                        ;       Child Loop BB15_10 Depth 3
	v_ashrrev_i32_e32 v3, 31, v2
	v_lshlrev_b64 v[6:7], 2, v[2:3]
	v_lshl_add_u64 v[4:5], s[24:25], 0, v[6:7]
	global_load_dword v4, v[4:5], off
	v_lshl_add_u64 v[6:7], s[26:27], 0, v[6:7]
	s_waitcnt vmcnt(0)
	v_subrev_u32_e32 v4, s38, v4
	v_ashrrev_i32_e32 v5, 31, v4
	v_lshlrev_b64 v[8:9], 2, v[4:5]
	v_lshl_add_u64 v[14:15], s[14:15], 0, v[8:9]
	global_load_dword v5, v[14:15], off
	v_mov_b32_e32 v15, 0
	global_load_dword v14, v[6:7], off
	v_lshl_add_u64 v[6:7], s[4:5], 0, v[8:9]
	v_lshl_add_u64 v[8:9], s[18:19], 0, v[8:9]
	global_load_dword v6, v[6:7], off
	s_waitcnt vmcnt(2)
	v_subrev_u32_e32 v16, s38, v5
	global_load_dword v7, v[8:9], off
	v_ashrrev_i32_e32 v17, 31, v16
	v_lshl_add_u64 v[8:9], v[16:17], 2, s[10:11]
	global_load_dword v5, v[8:9], off
	s_waitcnt vmcnt(1)
	v_cmp_lt_i32_e32 vcc, v7, v6
	s_and_b64 s[2:3], s[0:1], vcc
	s_and_saveexec_b64 s[34:35], s[2:3]
	s_cbranch_execz .LBB15_13
; %bb.8:                                ;   in Loop: Header=BB15_7 Depth=2
	v_subrev_u32_e32 v16, s38, v6
	v_subrev_u32_e32 v6, s38, v7
	v_mov_b32_e32 v15, 0
	s_mov_b64 s[36:37], 0
	v_mov_b32_e32 v8, v13
	s_branch .LBB15_10
.LBB15_9:                               ;   in Loop: Header=BB15_10 Depth=3
	s_or_b64 exec, exec, s[2:3]
	v_cmp_le_i32_e32 vcc, v17, v18
	s_nop 1
	v_addc_co_u32_e32 v8, vcc, 0, v8, vcc
	v_cmp_ge_i32_e32 vcc, v17, v18
	s_nop 1
	v_addc_co_u32_e32 v6, vcc, 0, v6, vcc
	v_cmp_ge_i32_e32 vcc, v8, v12
	v_cmp_ge_i32_e64 s[2:3], v6, v16
	s_or_b64 s[2:3], vcc, s[2:3]
	s_and_b64 s[2:3], exec, s[2:3]
	s_or_b64 s[36:37], s[2:3], s[36:37]
	s_andn2_b64 exec, exec, s[36:37]
	s_cbranch_execz .LBB15_12
.LBB15_10:                              ;   Parent Loop BB15_3 Depth=1
                                        ;     Parent Loop BB15_7 Depth=2
                                        ; =>    This Inner Loop Header: Depth=3
	v_ashrrev_i32_e32 v9, 31, v8
	v_lshl_add_u64 v[18:19], v[8:9], 2, s[16:17]
	v_ashrrev_i32_e32 v7, 31, v6
	global_load_dword v17, v[18:19], off
	v_lshl_add_u64 v[18:19], v[6:7], 2, s[6:7]
	global_load_dword v18, v[18:19], off
	s_waitcnt vmcnt(0)
	v_cmp_eq_u32_e32 vcc, v17, v18
	s_and_saveexec_b64 s[2:3], vcc
	s_cbranch_execz .LBB15_9
; %bb.11:                               ;   in Loop: Header=BB15_10 Depth=3
	v_lshl_add_u64 v[20:21], v[6:7], 2, s[8:9]
	global_load_dword v20, v[20:21], off
	v_lshl_add_u64 v[22:23], v[8:9], 2, s[10:11]
	global_load_dword v7, v[22:23], off
	s_waitcnt vmcnt(1)
	v_ashrrev_i32_e32 v21, 31, v20
	v_lshl_add_u64 v[20:21], v[20:21], 2, s[10:11]
	global_load_dword v9, v[20:21], off
	s_waitcnt vmcnt(0)
	v_fmac_f32_e32 v15, v7, v9
	s_branch .LBB15_9
.LBB15_12:                              ;   in Loop: Header=BB15_7 Depth=2
	s_or_b64 exec, exec, s[36:37]
.LBB15_13:                              ;   in Loop: Header=BB15_7 Depth=2
	s_or_b64 exec, exec, s[34:35]
	v_sub_f32_e32 v6, v14, v15
	s_waitcnt vmcnt(0)
	v_div_scale_f32 v7, s[2:3], v5, v5, v6
	v_rcp_f32_e32 v8, v7
	v_div_scale_f32 v9, vcc, v6, v5, v6
	v_fma_f32 v14, -v7, v8, 1.0
	v_fmac_f32_e32 v8, v14, v8
	v_mul_f32_e32 v14, v9, v8
	v_fma_f32 v15, -v7, v14, v9
	v_fmac_f32_e32 v14, v15, v8
	v_fma_f32 v7, -v7, v14, v9
	v_div_fmas_f32 v7, v7, v8, v14
	v_div_fixup_f32 v5, v7, v5, v6
	v_cmp_gt_i32_e32 vcc, v0, v4
	s_nop 1
	v_cndmask_b32_e32 v4, v6, v5, vcc
	v_cmp_class_f32_e64 s[34:35], v4, s40
	s_and_saveexec_b64 s[2:3], s[34:35]
	s_cbranch_execz .LBB15_6
; %bb.14:                               ;   in Loop: Header=BB15_7 Depth=2
	v_lshl_add_u64 v[6:7], v[2:3], 2, s[10:11]
	global_store_dword v[6:7], v4, off
	s_branch .LBB15_6
.LBB15_15:
	s_endpgm
	.section	.rodata,"a",@progbits
	.p2align	6, 0x0
	.amdhsa_kernel _ZN9rocsparseL16kernel_calculateILi1024ELi64ELb0EfiiEEvT4_T3_PKS2_S4_PKS1_PKT2_21rocsparse_index_base_S4_S4_S6_S4_S4_S6_S4_PS7_PNS_15floating_traitsIS7_E6data_tEPKSE_
		.amdhsa_group_segment_fixed_size 0
		.amdhsa_private_segment_fixed_size 0
		.amdhsa_kernarg_size 128
		.amdhsa_user_sgpr_count 2
		.amdhsa_user_sgpr_dispatch_ptr 0
		.amdhsa_user_sgpr_queue_ptr 0
		.amdhsa_user_sgpr_kernarg_segment_ptr 1
		.amdhsa_user_sgpr_dispatch_id 0
		.amdhsa_user_sgpr_kernarg_preload_length 0
		.amdhsa_user_sgpr_kernarg_preload_offset 0
		.amdhsa_user_sgpr_private_segment_size 0
		.amdhsa_uses_dynamic_stack 0
		.amdhsa_enable_private_segment 0
		.amdhsa_system_sgpr_workgroup_id_x 1
		.amdhsa_system_sgpr_workgroup_id_y 0
		.amdhsa_system_sgpr_workgroup_id_z 0
		.amdhsa_system_sgpr_workgroup_info 0
		.amdhsa_system_vgpr_workitem_id 0
		.amdhsa_next_free_vgpr 24
		.amdhsa_next_free_sgpr 41
		.amdhsa_accum_offset 24
		.amdhsa_reserve_vcc 1
		.amdhsa_float_round_mode_32 0
		.amdhsa_float_round_mode_16_64 0
		.amdhsa_float_denorm_mode_32 3
		.amdhsa_float_denorm_mode_16_64 3
		.amdhsa_dx10_clamp 1
		.amdhsa_ieee_mode 1
		.amdhsa_fp16_overflow 0
		.amdhsa_tg_split 0
		.amdhsa_exception_fp_ieee_invalid_op 0
		.amdhsa_exception_fp_denorm_src 0
		.amdhsa_exception_fp_ieee_div_zero 0
		.amdhsa_exception_fp_ieee_overflow 0
		.amdhsa_exception_fp_ieee_underflow 0
		.amdhsa_exception_fp_ieee_inexact 0
		.amdhsa_exception_int_div_zero 0
	.end_amdhsa_kernel
	.section	.text._ZN9rocsparseL16kernel_calculateILi1024ELi64ELb0EfiiEEvT4_T3_PKS2_S4_PKS1_PKT2_21rocsparse_index_base_S4_S4_S6_S4_S4_S6_S4_PS7_PNS_15floating_traitsIS7_E6data_tEPKSE_,"axG",@progbits,_ZN9rocsparseL16kernel_calculateILi1024ELi64ELb0EfiiEEvT4_T3_PKS2_S4_PKS1_PKT2_21rocsparse_index_base_S4_S4_S6_S4_S4_S6_S4_PS7_PNS_15floating_traitsIS7_E6data_tEPKSE_,comdat
.Lfunc_end15:
	.size	_ZN9rocsparseL16kernel_calculateILi1024ELi64ELb0EfiiEEvT4_T3_PKS2_S4_PKS1_PKT2_21rocsparse_index_base_S4_S4_S6_S4_S4_S6_S4_PS7_PNS_15floating_traitsIS7_E6data_tEPKSE_, .Lfunc_end15-_ZN9rocsparseL16kernel_calculateILi1024ELi64ELb0EfiiEEvT4_T3_PKS2_S4_PKS1_PKT2_21rocsparse_index_base_S4_S4_S6_S4_S4_S6_S4_PS7_PNS_15floating_traitsIS7_E6data_tEPKSE_
                                        ; -- End function
	.set _ZN9rocsparseL16kernel_calculateILi1024ELi64ELb0EfiiEEvT4_T3_PKS2_S4_PKS1_PKT2_21rocsparse_index_base_S4_S4_S6_S4_S4_S6_S4_PS7_PNS_15floating_traitsIS7_E6data_tEPKSE_.num_vgpr, 24
	.set _ZN9rocsparseL16kernel_calculateILi1024ELi64ELb0EfiiEEvT4_T3_PKS2_S4_PKS1_PKT2_21rocsparse_index_base_S4_S4_S6_S4_S4_S6_S4_PS7_PNS_15floating_traitsIS7_E6data_tEPKSE_.num_agpr, 0
	.set _ZN9rocsparseL16kernel_calculateILi1024ELi64ELb0EfiiEEvT4_T3_PKS2_S4_PKS1_PKT2_21rocsparse_index_base_S4_S4_S6_S4_S4_S6_S4_PS7_PNS_15floating_traitsIS7_E6data_tEPKSE_.numbered_sgpr, 41
	.set _ZN9rocsparseL16kernel_calculateILi1024ELi64ELb0EfiiEEvT4_T3_PKS2_S4_PKS1_PKT2_21rocsparse_index_base_S4_S4_S6_S4_S4_S6_S4_PS7_PNS_15floating_traitsIS7_E6data_tEPKSE_.num_named_barrier, 0
	.set _ZN9rocsparseL16kernel_calculateILi1024ELi64ELb0EfiiEEvT4_T3_PKS2_S4_PKS1_PKT2_21rocsparse_index_base_S4_S4_S6_S4_S4_S6_S4_PS7_PNS_15floating_traitsIS7_E6data_tEPKSE_.private_seg_size, 0
	.set _ZN9rocsparseL16kernel_calculateILi1024ELi64ELb0EfiiEEvT4_T3_PKS2_S4_PKS1_PKT2_21rocsparse_index_base_S4_S4_S6_S4_S4_S6_S4_PS7_PNS_15floating_traitsIS7_E6data_tEPKSE_.uses_vcc, 1
	.set _ZN9rocsparseL16kernel_calculateILi1024ELi64ELb0EfiiEEvT4_T3_PKS2_S4_PKS1_PKT2_21rocsparse_index_base_S4_S4_S6_S4_S4_S6_S4_PS7_PNS_15floating_traitsIS7_E6data_tEPKSE_.uses_flat_scratch, 0
	.set _ZN9rocsparseL16kernel_calculateILi1024ELi64ELb0EfiiEEvT4_T3_PKS2_S4_PKS1_PKT2_21rocsparse_index_base_S4_S4_S6_S4_S4_S6_S4_PS7_PNS_15floating_traitsIS7_E6data_tEPKSE_.has_dyn_sized_stack, 0
	.set _ZN9rocsparseL16kernel_calculateILi1024ELi64ELb0EfiiEEvT4_T3_PKS2_S4_PKS1_PKT2_21rocsparse_index_base_S4_S4_S6_S4_S4_S6_S4_PS7_PNS_15floating_traitsIS7_E6data_tEPKSE_.has_recursion, 0
	.set _ZN9rocsparseL16kernel_calculateILi1024ELi64ELb0EfiiEEvT4_T3_PKS2_S4_PKS1_PKT2_21rocsparse_index_base_S4_S4_S6_S4_S4_S6_S4_PS7_PNS_15floating_traitsIS7_E6data_tEPKSE_.has_indirect_call, 0
	.section	.AMDGPU.csdata,"",@progbits
; Kernel info:
; codeLenInByte = 800
; TotalNumSgprs: 47
; NumVgprs: 24
; NumAgprs: 0
; TotalNumVgprs: 24
; ScratchSize: 0
; MemoryBound: 0
; FloatMode: 240
; IeeeMode: 1
; LDSByteSize: 0 bytes/workgroup (compile time only)
; SGPRBlocks: 5
; VGPRBlocks: 2
; NumSGPRsForWavesPerEU: 47
; NumVGPRsForWavesPerEU: 24
; AccumOffset: 24
; Occupancy: 8
; WaveLimiterHint : 1
; COMPUTE_PGM_RSRC2:SCRATCH_EN: 0
; COMPUTE_PGM_RSRC2:USER_SGPR: 2
; COMPUTE_PGM_RSRC2:TRAP_HANDLER: 0
; COMPUTE_PGM_RSRC2:TGID_X_EN: 1
; COMPUTE_PGM_RSRC2:TGID_Y_EN: 0
; COMPUTE_PGM_RSRC2:TGID_Z_EN: 0
; COMPUTE_PGM_RSRC2:TIDIG_COMP_CNT: 0
; COMPUTE_PGM_RSRC3_GFX90A:ACCUM_OFFSET: 5
; COMPUTE_PGM_RSRC3_GFX90A:TG_SPLIT: 0
	.section	.text._ZN9rocsparseL20kernel_calculate_cooILi1024ELi32ELb0EfiiEEvT4_T3_PKS1_S4_PKT2_21rocsparse_index_base_PKS2_SA_S4_SA_SA_S4_SA_PS5_PNS_15floating_traitsIS5_E6data_tEPKSE_,"axG",@progbits,_ZN9rocsparseL20kernel_calculate_cooILi1024ELi32ELb0EfiiEEvT4_T3_PKS1_S4_PKT2_21rocsparse_index_base_PKS2_SA_S4_SA_SA_S4_SA_PS5_PNS_15floating_traitsIS5_E6data_tEPKSE_,comdat
	.globl	_ZN9rocsparseL20kernel_calculate_cooILi1024ELi32ELb0EfiiEEvT4_T3_PKS1_S4_PKT2_21rocsparse_index_base_PKS2_SA_S4_SA_SA_S4_SA_PS5_PNS_15floating_traitsIS5_E6data_tEPKSE_ ; -- Begin function _ZN9rocsparseL20kernel_calculate_cooILi1024ELi32ELb0EfiiEEvT4_T3_PKS1_S4_PKT2_21rocsparse_index_base_PKS2_SA_S4_SA_SA_S4_SA_PS5_PNS_15floating_traitsIS5_E6data_tEPKSE_
	.p2align	8
	.type	_ZN9rocsparseL20kernel_calculate_cooILi1024ELi32ELb0EfiiEEvT4_T3_PKS1_S4_PKT2_21rocsparse_index_base_PKS2_SA_S4_SA_SA_S4_SA_PS5_PNS_15floating_traitsIS5_E6data_tEPKSE_,@function
_ZN9rocsparseL20kernel_calculate_cooILi1024ELi32ELb0EfiiEEvT4_T3_PKS1_S4_PKT2_21rocsparse_index_base_PKS2_SA_S4_SA_SA_S4_SA_PS5_PNS_15floating_traitsIS5_E6data_tEPKSE_: ; @_ZN9rocsparseL20kernel_calculate_cooILi1024ELi32ELb0EfiiEEvT4_T3_PKS1_S4_PKT2_21rocsparse_index_base_PKS2_SA_S4_SA_SA_S4_SA_PS5_PNS_15floating_traitsIS5_E6data_tEPKSE_
; %bb.0:
	s_load_dword s30, s[0:1], 0x4
	v_lshl_or_b32 v0, s2, 16, v0
	s_waitcnt lgkmcnt(0)
	v_cmp_gt_i32_e32 vcc, s30, v0
	s_and_saveexec_b64 s[2:3], vcc
	s_cbranch_execz .LBB16_12
; %bb.1:
	s_load_dwordx8 s[4:11], s[0:1], 0x48
	s_load_dwordx4 s[20:23], s[0:1], 0x8
	s_load_dwordx2 s[2:3], s[0:1], 0x18
	s_load_dwordx8 s[12:19], s[0:1], 0x28
	s_load_dword s31, s[0:1], 0x20
	s_mov_b32 s33, 0
	s_movk_i32 s34, 0x1f8
	s_branch .LBB16_3
.LBB16_2:                               ;   in Loop: Header=BB16_3 Depth=1
	s_or_b64 exec, exec, s[24:25]
	s_add_i32 s33, s33, 1
	s_cmp_lg_u32 s33, 64
	v_add_u32_e32 v0, 0x400, v0
	s_cbranch_scc0 .LBB16_12
.LBB16_3:                               ; =>This Loop Header: Depth=1
                                        ;     Child Loop BB16_7 Depth 2
	v_cmp_gt_i32_e32 vcc, s30, v0
	s_and_saveexec_b64 s[24:25], vcc
	s_cbranch_execz .LBB16_2
; %bb.4:                                ;   in Loop: Header=BB16_3 Depth=1
	v_ashrrev_i32_e32 v1, 31, v0
	v_lshlrev_b64 v[4:5], 2, v[0:1]
	s_waitcnt lgkmcnt(0)
	v_lshl_add_u64 v[2:3], s[22:23], 0, v[4:5]
	global_load_dword v6, v[2:3], off
	v_lshl_add_u64 v[2:3], s[20:21], 0, v[4:5]
	global_load_dword v7, v[2:3], off
	v_lshl_add_u64 v[4:5], s[2:3], 0, v[4:5]
	global_load_dword v8, v[4:5], off
	s_waitcnt vmcnt(2)
	v_subrev_u32_e32 v2, s31, v6
	v_ashrrev_i32_e32 v3, 31, v2
	v_lshlrev_b64 v[10:11], 2, v[2:3]
	v_lshl_add_u64 v[2:3], s[14:15], 0, v[10:11]
	global_load_dword v9, v[2:3], off
	s_waitcnt vmcnt(2)
	v_subrev_u32_e32 v2, s31, v7
	v_ashrrev_i32_e32 v3, 31, v2
	v_lshlrev_b64 v[12:13], 2, v[2:3]
	v_lshl_add_u64 v[2:3], s[14:15], 0, v[12:13]
	v_lshl_add_u64 v[14:15], s[4:5], 0, v[10:11]
	;; [unrolled: 1-line block ×3, first 2 shown]
	global_load_dword v2, v[2:3], off
	v_lshl_add_u64 v[10:11], s[18:19], 0, v[10:11]
	global_load_dword v4, v[14:15], off
	global_load_dword v3, v[12:13], off
	;; [unrolled: 1-line block ×3, first 2 shown]
	s_waitcnt vmcnt(4)
	v_subrev_u32_e32 v12, s31, v9
	v_ashrrev_i32_e32 v13, 31, v12
	v_lshl_add_u64 v[10:11], v[12:13], 2, s[10:11]
	global_load_dword v9, v[10:11], off
	v_mov_b32_e32 v10, 0
	s_waitcnt vmcnt(2)
	v_cmp_lt_i32_e32 vcc, v3, v2
	s_waitcnt vmcnt(1)
	v_cmp_lt_i32_e64 s[0:1], v5, v4
	s_and_b64 s[0:1], vcc, s[0:1]
	s_and_saveexec_b64 s[26:27], s[0:1]
	s_cbranch_execz .LBB16_10
; %bb.5:                                ;   in Loop: Header=BB16_3 Depth=1
	v_subrev_u32_e32 v11, s31, v4
	v_subrev_u32_e32 v12, s31, v2
	;; [unrolled: 1-line block ×4, first 2 shown]
	v_mov_b32_e32 v10, 0
	s_mov_b64 s[28:29], 0
	s_branch .LBB16_7
.LBB16_6:                               ;   in Loop: Header=BB16_7 Depth=2
	s_or_b64 exec, exec, s[0:1]
	v_cmp_le_i32_e32 vcc, v13, v14
	s_nop 1
	v_addc_co_u32_e32 v4, vcc, 0, v4, vcc
	v_cmp_ge_i32_e32 vcc, v13, v14
	s_nop 1
	v_addc_co_u32_e32 v2, vcc, 0, v2, vcc
	v_cmp_ge_i32_e32 vcc, v4, v12
	v_cmp_ge_i32_e64 s[0:1], v2, v11
	s_or_b64 s[0:1], vcc, s[0:1]
	s_and_b64 s[0:1], exec, s[0:1]
	s_or_b64 s[28:29], s[0:1], s[28:29]
	s_andn2_b64 exec, exec, s[28:29]
	s_cbranch_execz .LBB16_9
.LBB16_7:                               ;   Parent Loop BB16_3 Depth=1
                                        ; =>  This Inner Loop Header: Depth=2
	v_ashrrev_i32_e32 v5, 31, v4
	v_lshl_add_u64 v[14:15], v[4:5], 2, s[16:17]
	v_ashrrev_i32_e32 v3, 31, v2
	global_load_dword v13, v[14:15], off
	v_lshl_add_u64 v[14:15], v[2:3], 2, s[6:7]
	global_load_dword v14, v[14:15], off
	s_waitcnt vmcnt(0)
	v_cmp_eq_u32_e32 vcc, v13, v14
	s_and_saveexec_b64 s[0:1], vcc
	s_cbranch_execz .LBB16_6
; %bb.8:                                ;   in Loop: Header=BB16_7 Depth=2
	v_lshl_add_u64 v[16:17], v[2:3], 2, s[8:9]
	global_load_dword v16, v[16:17], off
	v_lshl_add_u64 v[18:19], v[4:5], 2, s[10:11]
	global_load_dword v3, v[18:19], off
	s_waitcnt vmcnt(1)
	v_ashrrev_i32_e32 v17, 31, v16
	v_lshl_add_u64 v[16:17], v[16:17], 2, s[10:11]
	global_load_dword v5, v[16:17], off
	s_waitcnt vmcnt(0)
	v_fmac_f32_e32 v10, v3, v5
	s_branch .LBB16_6
.LBB16_9:                               ;   in Loop: Header=BB16_3 Depth=1
	s_or_b64 exec, exec, s[28:29]
.LBB16_10:                              ;   in Loop: Header=BB16_3 Depth=1
	s_or_b64 exec, exec, s[26:27]
	v_sub_f32_e32 v2, v8, v10
	s_waitcnt vmcnt(0)
	v_div_scale_f32 v3, s[0:1], v9, v9, v2
	v_rcp_f32_e32 v4, v3
	v_div_scale_f32 v5, vcc, v2, v9, v2
	v_fma_f32 v8, -v3, v4, 1.0
	v_fmac_f32_e32 v4, v8, v4
	v_mul_f32_e32 v8, v5, v4
	v_fma_f32 v10, -v3, v8, v5
	v_fmac_f32_e32 v8, v10, v4
	v_fma_f32 v3, -v3, v8, v5
	v_div_fmas_f32 v3, v3, v4, v8
	v_div_fixup_f32 v3, v3, v9, v2
	v_cmp_gt_i32_e32 vcc, v7, v6
	s_nop 1
	v_cndmask_b32_e32 v2, v2, v3, vcc
	v_cmp_class_f32_e64 s[0:1], v2, s34
	s_and_b64 exec, exec, s[0:1]
	s_cbranch_execz .LBB16_2
; %bb.11:                               ;   in Loop: Header=BB16_3 Depth=1
	v_lshl_add_u64 v[4:5], v[0:1], 2, s[10:11]
	global_store_dword v[4:5], v2, off
	s_branch .LBB16_2
.LBB16_12:
	s_endpgm
	.section	.rodata,"a",@progbits
	.p2align	6, 0x0
	.amdhsa_kernel _ZN9rocsparseL20kernel_calculate_cooILi1024ELi32ELb0EfiiEEvT4_T3_PKS1_S4_PKT2_21rocsparse_index_base_PKS2_SA_S4_SA_SA_S4_SA_PS5_PNS_15floating_traitsIS5_E6data_tEPKSE_
		.amdhsa_group_segment_fixed_size 0
		.amdhsa_private_segment_fixed_size 0
		.amdhsa_kernarg_size 120
		.amdhsa_user_sgpr_count 2
		.amdhsa_user_sgpr_dispatch_ptr 0
		.amdhsa_user_sgpr_queue_ptr 0
		.amdhsa_user_sgpr_kernarg_segment_ptr 1
		.amdhsa_user_sgpr_dispatch_id 0
		.amdhsa_user_sgpr_kernarg_preload_length 0
		.amdhsa_user_sgpr_kernarg_preload_offset 0
		.amdhsa_user_sgpr_private_segment_size 0
		.amdhsa_uses_dynamic_stack 0
		.amdhsa_enable_private_segment 0
		.amdhsa_system_sgpr_workgroup_id_x 1
		.amdhsa_system_sgpr_workgroup_id_y 0
		.amdhsa_system_sgpr_workgroup_id_z 0
		.amdhsa_system_sgpr_workgroup_info 0
		.amdhsa_system_vgpr_workitem_id 0
		.amdhsa_next_free_vgpr 20
		.amdhsa_next_free_sgpr 35
		.amdhsa_accum_offset 20
		.amdhsa_reserve_vcc 1
		.amdhsa_float_round_mode_32 0
		.amdhsa_float_round_mode_16_64 0
		.amdhsa_float_denorm_mode_32 3
		.amdhsa_float_denorm_mode_16_64 3
		.amdhsa_dx10_clamp 1
		.amdhsa_ieee_mode 1
		.amdhsa_fp16_overflow 0
		.amdhsa_tg_split 0
		.amdhsa_exception_fp_ieee_invalid_op 0
		.amdhsa_exception_fp_denorm_src 0
		.amdhsa_exception_fp_ieee_div_zero 0
		.amdhsa_exception_fp_ieee_overflow 0
		.amdhsa_exception_fp_ieee_underflow 0
		.amdhsa_exception_fp_ieee_inexact 0
		.amdhsa_exception_int_div_zero 0
	.end_amdhsa_kernel
	.section	.text._ZN9rocsparseL20kernel_calculate_cooILi1024ELi32ELb0EfiiEEvT4_T3_PKS1_S4_PKT2_21rocsparse_index_base_PKS2_SA_S4_SA_SA_S4_SA_PS5_PNS_15floating_traitsIS5_E6data_tEPKSE_,"axG",@progbits,_ZN9rocsparseL20kernel_calculate_cooILi1024ELi32ELb0EfiiEEvT4_T3_PKS1_S4_PKT2_21rocsparse_index_base_PKS2_SA_S4_SA_SA_S4_SA_PS5_PNS_15floating_traitsIS5_E6data_tEPKSE_,comdat
.Lfunc_end16:
	.size	_ZN9rocsparseL20kernel_calculate_cooILi1024ELi32ELb0EfiiEEvT4_T3_PKS1_S4_PKT2_21rocsparse_index_base_PKS2_SA_S4_SA_SA_S4_SA_PS5_PNS_15floating_traitsIS5_E6data_tEPKSE_, .Lfunc_end16-_ZN9rocsparseL20kernel_calculate_cooILi1024ELi32ELb0EfiiEEvT4_T3_PKS1_S4_PKT2_21rocsparse_index_base_PKS2_SA_S4_SA_SA_S4_SA_PS5_PNS_15floating_traitsIS5_E6data_tEPKSE_
                                        ; -- End function
	.set _ZN9rocsparseL20kernel_calculate_cooILi1024ELi32ELb0EfiiEEvT4_T3_PKS1_S4_PKT2_21rocsparse_index_base_PKS2_SA_S4_SA_SA_S4_SA_PS5_PNS_15floating_traitsIS5_E6data_tEPKSE_.num_vgpr, 20
	.set _ZN9rocsparseL20kernel_calculate_cooILi1024ELi32ELb0EfiiEEvT4_T3_PKS1_S4_PKT2_21rocsparse_index_base_PKS2_SA_S4_SA_SA_S4_SA_PS5_PNS_15floating_traitsIS5_E6data_tEPKSE_.num_agpr, 0
	.set _ZN9rocsparseL20kernel_calculate_cooILi1024ELi32ELb0EfiiEEvT4_T3_PKS1_S4_PKT2_21rocsparse_index_base_PKS2_SA_S4_SA_SA_S4_SA_PS5_PNS_15floating_traitsIS5_E6data_tEPKSE_.numbered_sgpr, 35
	.set _ZN9rocsparseL20kernel_calculate_cooILi1024ELi32ELb0EfiiEEvT4_T3_PKS1_S4_PKT2_21rocsparse_index_base_PKS2_SA_S4_SA_SA_S4_SA_PS5_PNS_15floating_traitsIS5_E6data_tEPKSE_.num_named_barrier, 0
	.set _ZN9rocsparseL20kernel_calculate_cooILi1024ELi32ELb0EfiiEEvT4_T3_PKS1_S4_PKT2_21rocsparse_index_base_PKS2_SA_S4_SA_SA_S4_SA_PS5_PNS_15floating_traitsIS5_E6data_tEPKSE_.private_seg_size, 0
	.set _ZN9rocsparseL20kernel_calculate_cooILi1024ELi32ELb0EfiiEEvT4_T3_PKS1_S4_PKT2_21rocsparse_index_base_PKS2_SA_S4_SA_SA_S4_SA_PS5_PNS_15floating_traitsIS5_E6data_tEPKSE_.uses_vcc, 1
	.set _ZN9rocsparseL20kernel_calculate_cooILi1024ELi32ELb0EfiiEEvT4_T3_PKS1_S4_PKT2_21rocsparse_index_base_PKS2_SA_S4_SA_SA_S4_SA_PS5_PNS_15floating_traitsIS5_E6data_tEPKSE_.uses_flat_scratch, 0
	.set _ZN9rocsparseL20kernel_calculate_cooILi1024ELi32ELb0EfiiEEvT4_T3_PKS1_S4_PKT2_21rocsparse_index_base_PKS2_SA_S4_SA_SA_S4_SA_PS5_PNS_15floating_traitsIS5_E6data_tEPKSE_.has_dyn_sized_stack, 0
	.set _ZN9rocsparseL20kernel_calculate_cooILi1024ELi32ELb0EfiiEEvT4_T3_PKS1_S4_PKT2_21rocsparse_index_base_PKS2_SA_S4_SA_SA_S4_SA_PS5_PNS_15floating_traitsIS5_E6data_tEPKSE_.has_recursion, 0
	.set _ZN9rocsparseL20kernel_calculate_cooILi1024ELi32ELb0EfiiEEvT4_T3_PKS1_S4_PKT2_21rocsparse_index_base_PKS2_SA_S4_SA_SA_S4_SA_PS5_PNS_15floating_traitsIS5_E6data_tEPKSE_.has_indirect_call, 0
	.section	.AMDGPU.csdata,"",@progbits
; Kernel info:
; codeLenInByte = 720
; TotalNumSgprs: 41
; NumVgprs: 20
; NumAgprs: 0
; TotalNumVgprs: 20
; ScratchSize: 0
; MemoryBound: 0
; FloatMode: 240
; IeeeMode: 1
; LDSByteSize: 0 bytes/workgroup (compile time only)
; SGPRBlocks: 5
; VGPRBlocks: 2
; NumSGPRsForWavesPerEU: 41
; NumVGPRsForWavesPerEU: 20
; AccumOffset: 20
; Occupancy: 8
; WaveLimiterHint : 1
; COMPUTE_PGM_RSRC2:SCRATCH_EN: 0
; COMPUTE_PGM_RSRC2:USER_SGPR: 2
; COMPUTE_PGM_RSRC2:TRAP_HANDLER: 0
; COMPUTE_PGM_RSRC2:TGID_X_EN: 1
; COMPUTE_PGM_RSRC2:TGID_Y_EN: 0
; COMPUTE_PGM_RSRC2:TGID_Z_EN: 0
; COMPUTE_PGM_RSRC2:TIDIG_COMP_CNT: 0
; COMPUTE_PGM_RSRC3_GFX90A:ACCUM_OFFSET: 4
; COMPUTE_PGM_RSRC3_GFX90A:TG_SPLIT: 0
	.section	.text._ZN9rocsparseL20kernel_calculate_cooILi1024ELi64ELb0EfiiEEvT4_T3_PKS1_S4_PKT2_21rocsparse_index_base_PKS2_SA_S4_SA_SA_S4_SA_PS5_PNS_15floating_traitsIS5_E6data_tEPKSE_,"axG",@progbits,_ZN9rocsparseL20kernel_calculate_cooILi1024ELi64ELb0EfiiEEvT4_T3_PKS1_S4_PKT2_21rocsparse_index_base_PKS2_SA_S4_SA_SA_S4_SA_PS5_PNS_15floating_traitsIS5_E6data_tEPKSE_,comdat
	.globl	_ZN9rocsparseL20kernel_calculate_cooILi1024ELi64ELb0EfiiEEvT4_T3_PKS1_S4_PKT2_21rocsparse_index_base_PKS2_SA_S4_SA_SA_S4_SA_PS5_PNS_15floating_traitsIS5_E6data_tEPKSE_ ; -- Begin function _ZN9rocsparseL20kernel_calculate_cooILi1024ELi64ELb0EfiiEEvT4_T3_PKS1_S4_PKT2_21rocsparse_index_base_PKS2_SA_S4_SA_SA_S4_SA_PS5_PNS_15floating_traitsIS5_E6data_tEPKSE_
	.p2align	8
	.type	_ZN9rocsparseL20kernel_calculate_cooILi1024ELi64ELb0EfiiEEvT4_T3_PKS1_S4_PKT2_21rocsparse_index_base_PKS2_SA_S4_SA_SA_S4_SA_PS5_PNS_15floating_traitsIS5_E6data_tEPKSE_,@function
_ZN9rocsparseL20kernel_calculate_cooILi1024ELi64ELb0EfiiEEvT4_T3_PKS1_S4_PKT2_21rocsparse_index_base_PKS2_SA_S4_SA_SA_S4_SA_PS5_PNS_15floating_traitsIS5_E6data_tEPKSE_: ; @_ZN9rocsparseL20kernel_calculate_cooILi1024ELi64ELb0EfiiEEvT4_T3_PKS1_S4_PKT2_21rocsparse_index_base_PKS2_SA_S4_SA_SA_S4_SA_PS5_PNS_15floating_traitsIS5_E6data_tEPKSE_
; %bb.0:
	s_load_dword s30, s[0:1], 0x4
	v_lshl_or_b32 v0, s2, 16, v0
	s_waitcnt lgkmcnt(0)
	v_cmp_gt_i32_e32 vcc, s30, v0
	s_and_saveexec_b64 s[2:3], vcc
	s_cbranch_execz .LBB17_12
; %bb.1:
	s_load_dwordx8 s[4:11], s[0:1], 0x48
	s_load_dwordx4 s[20:23], s[0:1], 0x8
	s_load_dwordx2 s[2:3], s[0:1], 0x18
	s_load_dwordx8 s[12:19], s[0:1], 0x28
	s_load_dword s31, s[0:1], 0x20
	s_mov_b32 s33, 0
	s_movk_i32 s34, 0x1f8
	s_branch .LBB17_3
.LBB17_2:                               ;   in Loop: Header=BB17_3 Depth=1
	s_or_b64 exec, exec, s[24:25]
	s_add_i32 s33, s33, 1
	s_cmp_lg_u32 s33, 64
	v_add_u32_e32 v0, 0x400, v0
	s_cbranch_scc0 .LBB17_12
.LBB17_3:                               ; =>This Loop Header: Depth=1
                                        ;     Child Loop BB17_7 Depth 2
	v_cmp_gt_i32_e32 vcc, s30, v0
	s_and_saveexec_b64 s[24:25], vcc
	s_cbranch_execz .LBB17_2
; %bb.4:                                ;   in Loop: Header=BB17_3 Depth=1
	v_ashrrev_i32_e32 v1, 31, v0
	v_lshlrev_b64 v[4:5], 2, v[0:1]
	s_waitcnt lgkmcnt(0)
	v_lshl_add_u64 v[2:3], s[22:23], 0, v[4:5]
	global_load_dword v6, v[2:3], off
	v_lshl_add_u64 v[2:3], s[20:21], 0, v[4:5]
	global_load_dword v7, v[2:3], off
	;; [unrolled: 2-line block ×3, first 2 shown]
	s_waitcnt vmcnt(2)
	v_subrev_u32_e32 v2, s31, v6
	v_ashrrev_i32_e32 v3, 31, v2
	v_lshlrev_b64 v[10:11], 2, v[2:3]
	v_lshl_add_u64 v[2:3], s[14:15], 0, v[10:11]
	global_load_dword v9, v[2:3], off
	s_waitcnt vmcnt(2)
	v_subrev_u32_e32 v2, s31, v7
	v_ashrrev_i32_e32 v3, 31, v2
	v_lshlrev_b64 v[12:13], 2, v[2:3]
	v_lshl_add_u64 v[2:3], s[14:15], 0, v[12:13]
	v_lshl_add_u64 v[14:15], s[4:5], 0, v[10:11]
	v_lshl_add_u64 v[12:13], s[12:13], 0, v[12:13]
	global_load_dword v2, v[2:3], off
	v_lshl_add_u64 v[10:11], s[18:19], 0, v[10:11]
	global_load_dword v4, v[14:15], off
	global_load_dword v3, v[12:13], off
	;; [unrolled: 1-line block ×3, first 2 shown]
	s_waitcnt vmcnt(4)
	v_subrev_u32_e32 v12, s31, v9
	v_ashrrev_i32_e32 v13, 31, v12
	v_lshl_add_u64 v[10:11], v[12:13], 2, s[10:11]
	global_load_dword v9, v[10:11], off
	v_mov_b32_e32 v10, 0
	s_waitcnt vmcnt(2)
	v_cmp_lt_i32_e32 vcc, v3, v2
	s_waitcnt vmcnt(1)
	v_cmp_lt_i32_e64 s[0:1], v5, v4
	s_and_b64 s[0:1], vcc, s[0:1]
	s_and_saveexec_b64 s[26:27], s[0:1]
	s_cbranch_execz .LBB17_10
; %bb.5:                                ;   in Loop: Header=BB17_3 Depth=1
	v_subrev_u32_e32 v11, s31, v4
	v_subrev_u32_e32 v12, s31, v2
	;; [unrolled: 1-line block ×4, first 2 shown]
	v_mov_b32_e32 v10, 0
	s_mov_b64 s[28:29], 0
	s_branch .LBB17_7
.LBB17_6:                               ;   in Loop: Header=BB17_7 Depth=2
	s_or_b64 exec, exec, s[0:1]
	v_cmp_le_i32_e32 vcc, v13, v14
	s_nop 1
	v_addc_co_u32_e32 v4, vcc, 0, v4, vcc
	v_cmp_ge_i32_e32 vcc, v13, v14
	s_nop 1
	v_addc_co_u32_e32 v2, vcc, 0, v2, vcc
	v_cmp_ge_i32_e32 vcc, v4, v12
	v_cmp_ge_i32_e64 s[0:1], v2, v11
	s_or_b64 s[0:1], vcc, s[0:1]
	s_and_b64 s[0:1], exec, s[0:1]
	s_or_b64 s[28:29], s[0:1], s[28:29]
	s_andn2_b64 exec, exec, s[28:29]
	s_cbranch_execz .LBB17_9
.LBB17_7:                               ;   Parent Loop BB17_3 Depth=1
                                        ; =>  This Inner Loop Header: Depth=2
	v_ashrrev_i32_e32 v5, 31, v4
	v_lshl_add_u64 v[14:15], v[4:5], 2, s[16:17]
	v_ashrrev_i32_e32 v3, 31, v2
	global_load_dword v13, v[14:15], off
	v_lshl_add_u64 v[14:15], v[2:3], 2, s[6:7]
	global_load_dword v14, v[14:15], off
	s_waitcnt vmcnt(0)
	v_cmp_eq_u32_e32 vcc, v13, v14
	s_and_saveexec_b64 s[0:1], vcc
	s_cbranch_execz .LBB17_6
; %bb.8:                                ;   in Loop: Header=BB17_7 Depth=2
	v_lshl_add_u64 v[16:17], v[2:3], 2, s[8:9]
	global_load_dword v16, v[16:17], off
	v_lshl_add_u64 v[18:19], v[4:5], 2, s[10:11]
	global_load_dword v3, v[18:19], off
	s_waitcnt vmcnt(1)
	v_ashrrev_i32_e32 v17, 31, v16
	v_lshl_add_u64 v[16:17], v[16:17], 2, s[10:11]
	global_load_dword v5, v[16:17], off
	s_waitcnt vmcnt(0)
	v_fmac_f32_e32 v10, v3, v5
	s_branch .LBB17_6
.LBB17_9:                               ;   in Loop: Header=BB17_3 Depth=1
	s_or_b64 exec, exec, s[28:29]
.LBB17_10:                              ;   in Loop: Header=BB17_3 Depth=1
	s_or_b64 exec, exec, s[26:27]
	v_sub_f32_e32 v2, v8, v10
	s_waitcnt vmcnt(0)
	v_div_scale_f32 v3, s[0:1], v9, v9, v2
	v_rcp_f32_e32 v4, v3
	v_div_scale_f32 v5, vcc, v2, v9, v2
	v_fma_f32 v8, -v3, v4, 1.0
	v_fmac_f32_e32 v4, v8, v4
	v_mul_f32_e32 v8, v5, v4
	v_fma_f32 v10, -v3, v8, v5
	v_fmac_f32_e32 v8, v10, v4
	v_fma_f32 v3, -v3, v8, v5
	v_div_fmas_f32 v3, v3, v4, v8
	v_div_fixup_f32 v3, v3, v9, v2
	v_cmp_gt_i32_e32 vcc, v7, v6
	s_nop 1
	v_cndmask_b32_e32 v2, v2, v3, vcc
	v_cmp_class_f32_e64 s[0:1], v2, s34
	s_and_b64 exec, exec, s[0:1]
	s_cbranch_execz .LBB17_2
; %bb.11:                               ;   in Loop: Header=BB17_3 Depth=1
	v_lshl_add_u64 v[4:5], v[0:1], 2, s[10:11]
	global_store_dword v[4:5], v2, off
	s_branch .LBB17_2
.LBB17_12:
	s_endpgm
	.section	.rodata,"a",@progbits
	.p2align	6, 0x0
	.amdhsa_kernel _ZN9rocsparseL20kernel_calculate_cooILi1024ELi64ELb0EfiiEEvT4_T3_PKS1_S4_PKT2_21rocsparse_index_base_PKS2_SA_S4_SA_SA_S4_SA_PS5_PNS_15floating_traitsIS5_E6data_tEPKSE_
		.amdhsa_group_segment_fixed_size 0
		.amdhsa_private_segment_fixed_size 0
		.amdhsa_kernarg_size 120
		.amdhsa_user_sgpr_count 2
		.amdhsa_user_sgpr_dispatch_ptr 0
		.amdhsa_user_sgpr_queue_ptr 0
		.amdhsa_user_sgpr_kernarg_segment_ptr 1
		.amdhsa_user_sgpr_dispatch_id 0
		.amdhsa_user_sgpr_kernarg_preload_length 0
		.amdhsa_user_sgpr_kernarg_preload_offset 0
		.amdhsa_user_sgpr_private_segment_size 0
		.amdhsa_uses_dynamic_stack 0
		.amdhsa_enable_private_segment 0
		.amdhsa_system_sgpr_workgroup_id_x 1
		.amdhsa_system_sgpr_workgroup_id_y 0
		.amdhsa_system_sgpr_workgroup_id_z 0
		.amdhsa_system_sgpr_workgroup_info 0
		.amdhsa_system_vgpr_workitem_id 0
		.amdhsa_next_free_vgpr 20
		.amdhsa_next_free_sgpr 35
		.amdhsa_accum_offset 20
		.amdhsa_reserve_vcc 1
		.amdhsa_float_round_mode_32 0
		.amdhsa_float_round_mode_16_64 0
		.amdhsa_float_denorm_mode_32 3
		.amdhsa_float_denorm_mode_16_64 3
		.amdhsa_dx10_clamp 1
		.amdhsa_ieee_mode 1
		.amdhsa_fp16_overflow 0
		.amdhsa_tg_split 0
		.amdhsa_exception_fp_ieee_invalid_op 0
		.amdhsa_exception_fp_denorm_src 0
		.amdhsa_exception_fp_ieee_div_zero 0
		.amdhsa_exception_fp_ieee_overflow 0
		.amdhsa_exception_fp_ieee_underflow 0
		.amdhsa_exception_fp_ieee_inexact 0
		.amdhsa_exception_int_div_zero 0
	.end_amdhsa_kernel
	.section	.text._ZN9rocsparseL20kernel_calculate_cooILi1024ELi64ELb0EfiiEEvT4_T3_PKS1_S4_PKT2_21rocsparse_index_base_PKS2_SA_S4_SA_SA_S4_SA_PS5_PNS_15floating_traitsIS5_E6data_tEPKSE_,"axG",@progbits,_ZN9rocsparseL20kernel_calculate_cooILi1024ELi64ELb0EfiiEEvT4_T3_PKS1_S4_PKT2_21rocsparse_index_base_PKS2_SA_S4_SA_SA_S4_SA_PS5_PNS_15floating_traitsIS5_E6data_tEPKSE_,comdat
.Lfunc_end17:
	.size	_ZN9rocsparseL20kernel_calculate_cooILi1024ELi64ELb0EfiiEEvT4_T3_PKS1_S4_PKT2_21rocsparse_index_base_PKS2_SA_S4_SA_SA_S4_SA_PS5_PNS_15floating_traitsIS5_E6data_tEPKSE_, .Lfunc_end17-_ZN9rocsparseL20kernel_calculate_cooILi1024ELi64ELb0EfiiEEvT4_T3_PKS1_S4_PKT2_21rocsparse_index_base_PKS2_SA_S4_SA_SA_S4_SA_PS5_PNS_15floating_traitsIS5_E6data_tEPKSE_
                                        ; -- End function
	.set _ZN9rocsparseL20kernel_calculate_cooILi1024ELi64ELb0EfiiEEvT4_T3_PKS1_S4_PKT2_21rocsparse_index_base_PKS2_SA_S4_SA_SA_S4_SA_PS5_PNS_15floating_traitsIS5_E6data_tEPKSE_.num_vgpr, 20
	.set _ZN9rocsparseL20kernel_calculate_cooILi1024ELi64ELb0EfiiEEvT4_T3_PKS1_S4_PKT2_21rocsparse_index_base_PKS2_SA_S4_SA_SA_S4_SA_PS5_PNS_15floating_traitsIS5_E6data_tEPKSE_.num_agpr, 0
	.set _ZN9rocsparseL20kernel_calculate_cooILi1024ELi64ELb0EfiiEEvT4_T3_PKS1_S4_PKT2_21rocsparse_index_base_PKS2_SA_S4_SA_SA_S4_SA_PS5_PNS_15floating_traitsIS5_E6data_tEPKSE_.numbered_sgpr, 35
	.set _ZN9rocsparseL20kernel_calculate_cooILi1024ELi64ELb0EfiiEEvT4_T3_PKS1_S4_PKT2_21rocsparse_index_base_PKS2_SA_S4_SA_SA_S4_SA_PS5_PNS_15floating_traitsIS5_E6data_tEPKSE_.num_named_barrier, 0
	.set _ZN9rocsparseL20kernel_calculate_cooILi1024ELi64ELb0EfiiEEvT4_T3_PKS1_S4_PKT2_21rocsparse_index_base_PKS2_SA_S4_SA_SA_S4_SA_PS5_PNS_15floating_traitsIS5_E6data_tEPKSE_.private_seg_size, 0
	.set _ZN9rocsparseL20kernel_calculate_cooILi1024ELi64ELb0EfiiEEvT4_T3_PKS1_S4_PKT2_21rocsparse_index_base_PKS2_SA_S4_SA_SA_S4_SA_PS5_PNS_15floating_traitsIS5_E6data_tEPKSE_.uses_vcc, 1
	.set _ZN9rocsparseL20kernel_calculate_cooILi1024ELi64ELb0EfiiEEvT4_T3_PKS1_S4_PKT2_21rocsparse_index_base_PKS2_SA_S4_SA_SA_S4_SA_PS5_PNS_15floating_traitsIS5_E6data_tEPKSE_.uses_flat_scratch, 0
	.set _ZN9rocsparseL20kernel_calculate_cooILi1024ELi64ELb0EfiiEEvT4_T3_PKS1_S4_PKT2_21rocsparse_index_base_PKS2_SA_S4_SA_SA_S4_SA_PS5_PNS_15floating_traitsIS5_E6data_tEPKSE_.has_dyn_sized_stack, 0
	.set _ZN9rocsparseL20kernel_calculate_cooILi1024ELi64ELb0EfiiEEvT4_T3_PKS1_S4_PKT2_21rocsparse_index_base_PKS2_SA_S4_SA_SA_S4_SA_PS5_PNS_15floating_traitsIS5_E6data_tEPKSE_.has_recursion, 0
	.set _ZN9rocsparseL20kernel_calculate_cooILi1024ELi64ELb0EfiiEEvT4_T3_PKS1_S4_PKT2_21rocsparse_index_base_PKS2_SA_S4_SA_SA_S4_SA_PS5_PNS_15floating_traitsIS5_E6data_tEPKSE_.has_indirect_call, 0
	.section	.AMDGPU.csdata,"",@progbits
; Kernel info:
; codeLenInByte = 720
; TotalNumSgprs: 41
; NumVgprs: 20
; NumAgprs: 0
; TotalNumVgprs: 20
; ScratchSize: 0
; MemoryBound: 0
; FloatMode: 240
; IeeeMode: 1
; LDSByteSize: 0 bytes/workgroup (compile time only)
; SGPRBlocks: 5
; VGPRBlocks: 2
; NumSGPRsForWavesPerEU: 41
; NumVGPRsForWavesPerEU: 20
; AccumOffset: 20
; Occupancy: 8
; WaveLimiterHint : 1
; COMPUTE_PGM_RSRC2:SCRATCH_EN: 0
; COMPUTE_PGM_RSRC2:USER_SGPR: 2
; COMPUTE_PGM_RSRC2:TRAP_HANDLER: 0
; COMPUTE_PGM_RSRC2:TGID_X_EN: 1
; COMPUTE_PGM_RSRC2:TGID_Y_EN: 0
; COMPUTE_PGM_RSRC2:TGID_Z_EN: 0
; COMPUTE_PGM_RSRC2:TIDIG_COMP_CNT: 0
; COMPUTE_PGM_RSRC3_GFX90A:ACCUM_OFFSET: 4
; COMPUTE_PGM_RSRC3_GFX90A:TG_SPLIT: 0
	.section	.text._ZN9rocsparseL20kernel_calculate_cooILi1024ELi32ELb1EdiiEEvT4_T3_PKS1_S4_PKT2_21rocsparse_index_base_PKS2_SA_S4_SA_SA_S4_SA_PS5_PNS_15floating_traitsIS5_E6data_tEPKSE_,"axG",@progbits,_ZN9rocsparseL20kernel_calculate_cooILi1024ELi32ELb1EdiiEEvT4_T3_PKS1_S4_PKT2_21rocsparse_index_base_PKS2_SA_S4_SA_SA_S4_SA_PS5_PNS_15floating_traitsIS5_E6data_tEPKSE_,comdat
	.globl	_ZN9rocsparseL20kernel_calculate_cooILi1024ELi32ELb1EdiiEEvT4_T3_PKS1_S4_PKT2_21rocsparse_index_base_PKS2_SA_S4_SA_SA_S4_SA_PS5_PNS_15floating_traitsIS5_E6data_tEPKSE_ ; -- Begin function _ZN9rocsparseL20kernel_calculate_cooILi1024ELi32ELb1EdiiEEvT4_T3_PKS1_S4_PKT2_21rocsparse_index_base_PKS2_SA_S4_SA_SA_S4_SA_PS5_PNS_15floating_traitsIS5_E6data_tEPKSE_
	.p2align	8
	.type	_ZN9rocsparseL20kernel_calculate_cooILi1024ELi32ELb1EdiiEEvT4_T3_PKS1_S4_PKT2_21rocsparse_index_base_PKS2_SA_S4_SA_SA_S4_SA_PS5_PNS_15floating_traitsIS5_E6data_tEPKSE_,@function
_ZN9rocsparseL20kernel_calculate_cooILi1024ELi32ELb1EdiiEEvT4_T3_PKS1_S4_PKT2_21rocsparse_index_base_PKS2_SA_S4_SA_SA_S4_SA_PS5_PNS_15floating_traitsIS5_E6data_tEPKSE_: ; @_ZN9rocsparseL20kernel_calculate_cooILi1024ELi32ELb1EdiiEEvT4_T3_PKS1_S4_PKT2_21rocsparse_index_base_PKS2_SA_S4_SA_SA_S4_SA_PS5_PNS_15floating_traitsIS5_E6data_tEPKSE_
; %bb.0:
	s_load_dword s33, s[0:1], 0x4
	v_lshl_or_b32 v4, s2, 16, v0
	v_mov_b64_e32 v[2:3], 0
	s_waitcnt lgkmcnt(0)
	v_cmp_gt_i32_e32 vcc, s33, v4
	s_and_saveexec_b64 s[24:25], vcc
	s_cbranch_execz .LBB18_29
; %bb.1:
	s_load_dwordx8 s[4:11], s[0:1], 0x48
	s_load_dwordx4 s[20:23], s[0:1], 0x8
	s_load_dwordx2 s[26:27], s[0:1], 0x18
	s_load_dwordx8 s[12:19], s[0:1], 0x28
	s_load_dword s44, s[0:1], 0x20
	s_mov_b32 s28, 0
	v_mov_b64_e32 v[2:3], 0
	s_mov_b32 s45, 0
	s_mov_b32 s29, 0x7ff00000
	s_movk_i32 s46, 0x1f8
	s_branch .LBB18_4
.LBB18_2:                               ;   in Loop: Header=BB18_4 Depth=1
	s_or_b64 exec, exec, s[36:37]
	v_and_b32_e32 v1, 0x7fffffff, v7
	s_or_b64 vcc, s[2:3], s[34:35]
	v_cndmask_b32_e32 v3, v1, v3, vcc
	v_cndmask_b32_e32 v2, v6, v2, vcc
.LBB18_3:                               ;   in Loop: Header=BB18_4 Depth=1
	s_or_b64 exec, exec, s[30:31]
	s_add_i32 s45, s45, 1
	s_cmp_lg_u32 s45, 64
	v_add_u32_e32 v4, 0x400, v4
	s_cbranch_scc0 .LBB18_29
.LBB18_4:                               ; =>This Loop Header: Depth=1
                                        ;     Child Loop BB18_8 Depth 2
                                        ;     Child Loop BB18_14 Depth 2
	;; [unrolled: 1-line block ×3, first 2 shown]
	v_cmp_gt_i32_e32 vcc, s33, v4
	s_and_saveexec_b64 s[30:31], vcc
	s_cbranch_execz .LBB18_3
; %bb.5:                                ;   in Loop: Header=BB18_4 Depth=1
	v_ashrrev_i32_e32 v5, 31, v4
	v_lshlrev_b64 v[6:7], 2, v[4:5]
	s_waitcnt lgkmcnt(0)
	v_lshl_add_u64 v[8:9], s[22:23], 0, v[6:7]
	global_load_dword v1, v[8:9], off
	v_lshl_add_u64 v[6:7], s[20:21], 0, v[6:7]
	global_load_dword v22, v[6:7], off
	s_waitcnt vmcnt(1)
	v_subrev_u32_e32 v6, s44, v1
	v_ashrrev_i32_e32 v7, 31, v6
	v_lshlrev_b64 v[6:7], 2, v[6:7]
	v_lshl_add_u64 v[8:9], s[14:15], 0, v[6:7]
	global_load_dword v14, v[8:9], off
	s_waitcnt vmcnt(1)
	v_subrev_u32_e32 v8, s44, v22
	v_ashrrev_i32_e32 v9, 31, v8
	v_lshlrev_b64 v[8:9], 2, v[8:9]
	v_lshl_add_u64 v[10:11], s[14:15], 0, v[8:9]
	v_lshl_add_u64 v[12:13], s[4:5], 0, v[6:7]
	;; [unrolled: 1-line block ×4, first 2 shown]
	global_load_dword v15, v[10:11], off
	v_lshl_add_u64 v[10:11], v[4:5], 3, s[26:27]
	global_load_dword v13, v[12:13], off
	s_waitcnt vmcnt(1)
	v_subrev_u32_e32 v23, s44, v15
	global_load_dword v17, v[8:9], off
	global_load_dword v18, v[6:7], off
	s_nop 0
	global_load_dwordx2 v[8:9], v[10:11], off
	v_subrev_u32_e32 v6, s44, v14
	v_ashrrev_i32_e32 v7, 31, v6
	v_lshl_add_u64 v[6:7], v[6:7], 3, s[10:11]
	global_load_dwordx2 v[6:7], v[6:7], off
	s_waitcnt vmcnt(4)
	v_subrev_u32_e32 v24, s44, v13
	v_mov_b64_e32 v[10:11], 0
	s_waitcnt vmcnt(3)
	v_cmp_lt_i32_e32 vcc, v17, v15
	s_waitcnt vmcnt(2)
	v_cmp_lt_i32_e64 s[2:3], v18, v13
	v_subrev_u32_e32 v12, s44, v17
	v_subrev_u32_e32 v16, s44, v18
	s_and_b64 s[2:3], vcc, s[2:3]
	s_and_saveexec_b64 s[34:35], s[2:3]
	s_cbranch_execz .LBB18_11
; %bb.6:                                ;   in Loop: Header=BB18_4 Depth=1
	v_mov_b64_e32 v[10:11], 0
	s_mov_b64 s[36:37], 0
	s_branch .LBB18_8
.LBB18_7:                               ;   in Loop: Header=BB18_8 Depth=2
	s_or_b64 exec, exec, s[2:3]
	v_cmp_le_i32_e32 vcc, v14, v15
	s_nop 1
	v_addc_co_u32_e32 v12, vcc, 0, v12, vcc
	v_cmp_ge_i32_e32 vcc, v14, v15
	s_nop 1
	v_addc_co_u32_e32 v16, vcc, 0, v16, vcc
	v_cmp_ge_i32_e32 vcc, v12, v23
	v_cmp_ge_i32_e64 s[2:3], v16, v24
	s_or_b64 s[2:3], vcc, s[2:3]
	s_and_b64 s[2:3], exec, s[2:3]
	s_or_b64 s[36:37], s[2:3], s[36:37]
	s_andn2_b64 exec, exec, s[36:37]
	s_cbranch_execz .LBB18_10
.LBB18_8:                               ;   Parent Loop BB18_4 Depth=1
                                        ; =>  This Inner Loop Header: Depth=2
	v_ashrrev_i32_e32 v13, 31, v12
	v_ashrrev_i32_e32 v17, 31, v16
	v_lshl_add_u64 v[14:15], v[12:13], 2, s[16:17]
	v_lshl_add_u64 v[18:19], v[16:17], 2, s[6:7]
	global_load_dword v14, v[14:15], off
	s_nop 0
	global_load_dword v15, v[18:19], off
	s_waitcnt vmcnt(0)
	v_cmp_eq_u32_e32 vcc, v14, v15
	s_and_saveexec_b64 s[2:3], vcc
	s_cbranch_execz .LBB18_7
; %bb.9:                                ;   in Loop: Header=BB18_8 Depth=2
	v_lshl_add_u64 v[18:19], v[16:17], 2, s[8:9]
	global_load_dword v18, v[18:19], off
	v_lshl_add_u64 v[20:21], v[12:13], 3, s[10:11]
	global_load_dwordx2 v[20:21], v[20:21], off
	s_waitcnt vmcnt(1)
	v_ashrrev_i32_e32 v19, 31, v18
	v_lshl_add_u64 v[18:19], v[18:19], 3, s[10:11]
	global_load_dwordx2 v[18:19], v[18:19], off
	s_waitcnt vmcnt(0)
	v_fmac_f64_e32 v[10:11], v[20:21], v[18:19]
	s_branch .LBB18_7
.LBB18_10:                              ;   in Loop: Header=BB18_4 Depth=1
	s_or_b64 exec, exec, s[36:37]
.LBB18_11:                              ;   in Loop: Header=BB18_4 Depth=1
	s_or_b64 exec, exec, s[34:35]
	s_waitcnt vmcnt(1)
	v_add_f64 v[14:15], v[10:11], -v[8:9]
	v_cmp_lt_i32_e32 vcc, v16, v24
	s_and_saveexec_b64 s[2:3], vcc
	s_cbranch_execz .LBB18_19
; %bb.12:                               ;   in Loop: Header=BB18_4 Depth=1
	v_ashrrev_i32_e32 v17, 31, v16
	v_lshl_add_u64 v[18:19], v[16:17], 2, s[6:7]
	s_mov_b64 s[34:35], 0
                                        ; implicit-def: $sgpr36_sgpr37
                                        ; implicit-def: $sgpr40_sgpr41
                                        ; implicit-def: $sgpr38_sgpr39
	s_branch .LBB18_14
.LBB18_13:                              ;   in Loop: Header=BB18_14 Depth=2
	s_or_b64 exec, exec, s[42:43]
	s_and_b64 s[42:43], exec, s[40:41]
	s_or_b64 s[34:35], s[42:43], s[34:35]
	s_andn2_b64 s[36:37], s[36:37], exec
	s_and_b64 s[42:43], s[38:39], exec
	s_or_b64 s[36:37], s[36:37], s[42:43]
	s_andn2_b64 exec, exec, s[34:35]
	s_cbranch_execz .LBB18_16
.LBB18_14:                              ;   Parent Loop BB18_4 Depth=1
                                        ; =>  This Inner Loop Header: Depth=2
	global_load_dword v13, v[18:19], off
	v_mov_b64_e32 v[20:21], v[16:17]
	s_or_b64 s[38:39], s[38:39], exec
	s_or_b64 s[40:41], s[40:41], exec
                                        ; implicit-def: $vgpr16_vgpr17
	s_waitcnt vmcnt(0)
	v_cmp_ne_u32_e32 vcc, v13, v22
	s_and_saveexec_b64 s[42:43], vcc
	s_cbranch_execz .LBB18_13
; %bb.15:                               ;   in Loop: Header=BB18_14 Depth=2
	v_lshl_add_u64 v[16:17], v[20:21], 0, 1
	v_cmp_ge_i32_e32 vcc, v16, v24
	s_andn2_b64 s[40:41], s[40:41], exec
	s_and_b64 s[48:49], vcc, exec
	v_lshl_add_u64 v[18:19], v[18:19], 0, 4
	s_andn2_b64 s[38:39], s[38:39], exec
	s_or_b64 s[40:41], s[40:41], s[48:49]
	s_branch .LBB18_13
.LBB18_16:                              ;   in Loop: Header=BB18_4 Depth=1
	s_or_b64 exec, exec, s[34:35]
	s_and_saveexec_b64 s[34:35], s[36:37]
	s_xor_b64 s[34:35], exec, s[34:35]
	s_cbranch_execz .LBB18_18
; %bb.17:                               ;   in Loop: Header=BB18_4 Depth=1
	v_lshl_add_u64 v[16:17], v[20:21], 2, s[8:9]
	global_load_dword v16, v[16:17], off
	s_waitcnt vmcnt(0)
	v_ashrrev_i32_e32 v17, 31, v16
	v_lshl_add_u64 v[16:17], v[16:17], 3, s[10:11]
	global_load_dwordx2 v[16:17], v[16:17], off
	s_waitcnt vmcnt(0)
	v_add_f64 v[14:15], v[14:15], v[16:17]
.LBB18_18:                              ;   in Loop: Header=BB18_4 Depth=1
	s_or_b64 exec, exec, s[34:35]
.LBB18_19:                              ;   in Loop: Header=BB18_4 Depth=1
	s_or_b64 exec, exec, s[2:3]
	v_cmp_lt_i32_e32 vcc, v12, v23
	s_and_saveexec_b64 s[2:3], vcc
	s_cbranch_execz .LBB18_27
; %bb.20:                               ;   in Loop: Header=BB18_4 Depth=1
	v_ashrrev_i32_e32 v13, 31, v12
	v_lshl_add_u64 v[16:17], v[12:13], 2, s[16:17]
	s_mov_b64 s[34:35], 0
                                        ; implicit-def: $sgpr36_sgpr37
                                        ; implicit-def: $sgpr40_sgpr41
                                        ; implicit-def: $sgpr38_sgpr39
	s_branch .LBB18_22
.LBB18_21:                              ;   in Loop: Header=BB18_22 Depth=2
	s_or_b64 exec, exec, s[42:43]
	s_and_b64 s[42:43], exec, s[40:41]
	s_or_b64 s[34:35], s[42:43], s[34:35]
	s_andn2_b64 s[36:37], s[36:37], exec
	s_and_b64 s[42:43], s[38:39], exec
	s_or_b64 s[36:37], s[36:37], s[42:43]
	s_andn2_b64 exec, exec, s[34:35]
	s_cbranch_execz .LBB18_24
.LBB18_22:                              ;   Parent Loop BB18_4 Depth=1
                                        ; =>  This Inner Loop Header: Depth=2
	global_load_dword v20, v[16:17], off
	v_mov_b64_e32 v[18:19], v[12:13]
	s_or_b64 s[38:39], s[38:39], exec
	s_or_b64 s[40:41], s[40:41], exec
                                        ; implicit-def: $vgpr12_vgpr13
	s_waitcnt vmcnt(0)
	v_cmp_ne_u32_e32 vcc, v20, v1
	s_and_saveexec_b64 s[42:43], vcc
	s_cbranch_execz .LBB18_21
; %bb.23:                               ;   in Loop: Header=BB18_22 Depth=2
	v_lshl_add_u64 v[12:13], v[18:19], 0, 1
	v_cmp_ge_i32_e32 vcc, v12, v23
	s_andn2_b64 s[40:41], s[40:41], exec
	s_and_b64 s[48:49], vcc, exec
	v_lshl_add_u64 v[16:17], v[16:17], 0, 4
	s_andn2_b64 s[38:39], s[38:39], exec
	s_or_b64 s[40:41], s[40:41], s[48:49]
	s_branch .LBB18_21
.LBB18_24:                              ;   in Loop: Header=BB18_4 Depth=1
	s_or_b64 exec, exec, s[34:35]
	s_and_saveexec_b64 s[34:35], s[36:37]
	s_xor_b64 s[34:35], exec, s[34:35]
	s_cbranch_execz .LBB18_26
; %bb.25:                               ;   in Loop: Header=BB18_4 Depth=1
	v_lshl_add_u64 v[12:13], v[18:19], 3, s[10:11]
	global_load_dwordx2 v[12:13], v[12:13], off
	s_waitcnt vmcnt(0)
	v_fmac_f64_e32 v[14:15], v[12:13], v[6:7]
.LBB18_26:                              ;   in Loop: Header=BB18_4 Depth=1
	s_or_b64 exec, exec, s[34:35]
.LBB18_27:                              ;   in Loop: Header=BB18_4 Depth=1
	s_or_b64 exec, exec, s[2:3]
	v_add_f64 v[8:9], v[8:9], -v[10:11]
	s_waitcnt vmcnt(0)
	v_div_scale_f64 v[10:11], s[2:3], v[6:7], v[6:7], v[8:9]
	v_rcp_f64_e32 v[12:13], v[10:11]
	v_div_scale_f64 v[16:17], vcc, v[8:9], v[6:7], v[8:9]
	v_fma_f64 v[18:19], -v[10:11], v[12:13], 1.0
	v_fmac_f64_e32 v[12:13], v[12:13], v[18:19]
	v_fma_f64 v[18:19], -v[10:11], v[12:13], 1.0
	v_fmac_f64_e32 v[12:13], v[12:13], v[18:19]
	v_mul_f64 v[18:19], v[16:17], v[12:13]
	v_fma_f64 v[10:11], -v[10:11], v[18:19], v[16:17]
	v_div_fmas_f64 v[10:11], v[10:11], v[12:13], v[18:19]
	v_div_fixup_f64 v[10:11], v[10:11], v[6:7], v[8:9]
	v_cmp_gt_i32_e32 vcc, v22, v1
	v_add_f64 v[6:7], v[6:7], v[14:15]
	s_nop 0
	v_cndmask_b32_e32 v9, v9, v11, vcc
	v_cndmask_b32_e32 v8, v8, v10, vcc
	v_cmp_eq_u32_e32 vcc, v22, v1
	v_cmp_class_f64_e64 s[38:39], v[8:9], s46
	s_nop 0
	v_cndmask_b32_e32 v7, v15, v7, vcc
	v_cndmask_b32_e32 v6, v14, v6, vcc
	v_cmp_nlg_f64_e64 s[2:3], |v[6:7]|, s[28:29]
	v_cmp_gt_f64_e64 s[34:35], v[2:3], |v[6:7]|
	s_and_saveexec_b64 s[36:37], s[38:39]
	s_cbranch_execz .LBB18_2
; %bb.28:                               ;   in Loop: Header=BB18_4 Depth=1
	v_lshl_add_u64 v[10:11], v[4:5], 3, s[10:11]
	global_store_dwordx2 v[10:11], v[8:9], off
	s_branch .LBB18_2
.LBB18_29:
	s_or_b64 exec, exec, s[24:25]
	v_mov_b32_dpp v4, v2 row_shr:1 row_mask:0xf bank_mask:0xf
	v_mov_b32_dpp v5, v3 row_shr:1 row_mask:0xf bank_mask:0xf
	v_cmp_lt_f64_e32 vcc, v[2:3], v[4:5]
	v_and_b32_e32 v1, 31, v0
	s_nop 0
	v_cndmask_b32_e32 v3, v3, v5, vcc
	v_cndmask_b32_e32 v2, v2, v4, vcc
	s_nop 0
	v_mov_b32_dpp v5, v3 row_shr:2 row_mask:0xf bank_mask:0xf
	v_mov_b32_dpp v4, v2 row_shr:2 row_mask:0xf bank_mask:0xf
	v_cmp_lt_f64_e32 vcc, v[2:3], v[4:5]
	s_nop 1
	v_cndmask_b32_e32 v3, v3, v5, vcc
	v_cndmask_b32_e32 v2, v2, v4, vcc
	s_nop 0
	v_mov_b32_dpp v5, v3 row_shr:4 row_mask:0xf bank_mask:0xe
	v_mov_b32_dpp v4, v2 row_shr:4 row_mask:0xf bank_mask:0xe
	v_cmp_lt_f64_e32 vcc, v[2:3], v[4:5]
	;; [unrolled: 7-line block ×3, first 2 shown]
	s_nop 1
	v_cndmask_b32_e32 v3, v3, v5, vcc
	v_cndmask_b32_e32 v2, v2, v4, vcc
	v_cmp_eq_u32_e32 vcc, 31, v1
	v_mov_b32_dpp v6, v3 row_bcast:15 row_mask:0xa bank_mask:0xf
	v_mov_b32_dpp v4, v2 row_bcast:15 row_mask:0xa bank_mask:0xf
	s_and_saveexec_b64 s[2:3], vcc
	s_cbranch_execz .LBB18_31
; %bb.30:
	v_mov_b32_e32 v5, v6
	v_lshrrev_b32_e32 v1, 2, v0
	v_cmp_lt_f64_e32 vcc, v[2:3], v[4:5]
	v_and_b32_e32 v1, 0xf8, v1
	s_nop 0
	v_cndmask_b32_e32 v3, v3, v6, vcc
	v_cndmask_b32_e32 v2, v2, v4, vcc
	ds_write_b64 v1, v[2:3]
.LBB18_31:
	s_or_b64 exec, exec, s[2:3]
	v_cmp_gt_u32_e32 vcc, 16, v0
	v_lshlrev_b32_e32 v1, 3, v0
	s_waitcnt lgkmcnt(0)
	s_barrier
	s_and_saveexec_b64 s[2:3], vcc
	s_cbranch_execz .LBB18_33
; %bb.32:
	ds_read2_b64 v[2:5], v1 offset1:16
	s_waitcnt lgkmcnt(0)
	v_cmp_lt_f64_e32 vcc, v[2:3], v[4:5]
	s_nop 1
	v_cndmask_b32_e32 v3, v3, v5, vcc
	v_cndmask_b32_e32 v2, v2, v4, vcc
	ds_write_b64 v1, v[2:3]
.LBB18_33:
	s_or_b64 exec, exec, s[2:3]
	v_cmp_gt_u32_e32 vcc, 8, v0
	s_waitcnt lgkmcnt(0)
	s_barrier
	s_and_saveexec_b64 s[2:3], vcc
	s_cbranch_execz .LBB18_35
; %bb.34:
	ds_read2_b64 v[2:5], v1 offset1:8
	s_waitcnt lgkmcnt(0)
	v_cmp_lt_f64_e32 vcc, v[2:3], v[4:5]
	s_nop 1
	v_cndmask_b32_e32 v3, v3, v5, vcc
	v_cndmask_b32_e32 v2, v2, v4, vcc
	ds_write_b64 v1, v[2:3]
.LBB18_35:
	s_or_b64 exec, exec, s[2:3]
	v_cmp_gt_u32_e32 vcc, 4, v0
	;; [unrolled: 15-line block ×3, first 2 shown]
	s_waitcnt lgkmcnt(0)
	s_barrier
	s_and_saveexec_b64 s[2:3], vcc
	s_cbranch_execz .LBB18_39
; %bb.38:
	ds_read2_b64 v[2:5], v1 offset1:2
	s_waitcnt lgkmcnt(0)
	v_cmp_lt_f64_e32 vcc, v[2:3], v[4:5]
	s_nop 1
	v_cndmask_b32_e32 v3, v3, v5, vcc
	v_cndmask_b32_e32 v2, v2, v4, vcc
	ds_write_b64 v1, v[2:3]
.LBB18_39:
	s_or_b64 exec, exec, s[2:3]
	v_cmp_eq_u32_e32 vcc, 0, v0
	s_waitcnt lgkmcnt(0)
	s_barrier
	s_and_saveexec_b64 s[4:5], vcc
	s_cbranch_execz .LBB18_41
; %bb.40:
	v_mov_b32_e32 v4, 0
	ds_read_b128 v[0:3], v4
	s_waitcnt lgkmcnt(0)
	v_cmp_lt_f64_e64 s[2:3], v[0:1], v[2:3]
	s_nop 1
	v_cndmask_b32_e64 v1, v1, v3, s[2:3]
	v_cndmask_b32_e64 v0, v0, v2, s[2:3]
	ds_write_b64 v4, v[0:1]
.LBB18_41:
	s_or_b64 exec, exec, s[4:5]
	s_waitcnt lgkmcnt(0)
	s_barrier
	s_and_saveexec_b64 s[2:3], vcc
	s_cbranch_execz .LBB18_44
; %bb.42:
	v_mbcnt_lo_u32_b32 v0, exec_lo, 0
	v_mbcnt_hi_u32_b32 v0, exec_hi, v0
	v_cmp_eq_u32_e32 vcc, 0, v0
	s_and_b64 exec, exec, vcc
	s_cbranch_execz .LBB18_44
; %bb.43:
	s_load_dwordx4 s[4:7], s[0:1], 0x68
	v_mov_b32_e32 v10, 0
	ds_read_b64 v[0:1], v10
	s_waitcnt lgkmcnt(0)
	s_load_dwordx2 s[0:1], s[6:7], 0x0
	s_waitcnt lgkmcnt(0)
	v_div_scale_f64 v[2:3], s[2:3], s[0:1], s[0:1], v[0:1]
	v_rcp_f64_e32 v[4:5], v[2:3]
	v_div_scale_f64 v[6:7], vcc, v[0:1], s[0:1], v[0:1]
	v_fma_f64 v[8:9], -v[2:3], v[4:5], 1.0
	v_fmac_f64_e32 v[4:5], v[4:5], v[8:9]
	v_fma_f64 v[8:9], -v[2:3], v[4:5], 1.0
	v_fmac_f64_e32 v[4:5], v[4:5], v[8:9]
	v_mul_f64 v[8:9], v[6:7], v[4:5]
	v_fma_f64 v[2:3], -v[2:3], v[8:9], v[6:7]
	v_div_fmas_f64 v[2:3], v[2:3], v[4:5], v[8:9]
	v_div_fixup_f64 v[0:1], v[2:3], s[0:1], v[0:1]
	global_atomic_max_f64 v10, v[0:1], s[4:5]
.LBB18_44:
	s_endpgm
	.section	.rodata,"a",@progbits
	.p2align	6, 0x0
	.amdhsa_kernel _ZN9rocsparseL20kernel_calculate_cooILi1024ELi32ELb1EdiiEEvT4_T3_PKS1_S4_PKT2_21rocsparse_index_base_PKS2_SA_S4_SA_SA_S4_SA_PS5_PNS_15floating_traitsIS5_E6data_tEPKSE_
		.amdhsa_group_segment_fixed_size 256
		.amdhsa_private_segment_fixed_size 0
		.amdhsa_kernarg_size 120
		.amdhsa_user_sgpr_count 2
		.amdhsa_user_sgpr_dispatch_ptr 0
		.amdhsa_user_sgpr_queue_ptr 0
		.amdhsa_user_sgpr_kernarg_segment_ptr 1
		.amdhsa_user_sgpr_dispatch_id 0
		.amdhsa_user_sgpr_kernarg_preload_length 0
		.amdhsa_user_sgpr_kernarg_preload_offset 0
		.amdhsa_user_sgpr_private_segment_size 0
		.amdhsa_uses_dynamic_stack 0
		.amdhsa_enable_private_segment 0
		.amdhsa_system_sgpr_workgroup_id_x 1
		.amdhsa_system_sgpr_workgroup_id_y 0
		.amdhsa_system_sgpr_workgroup_id_z 0
		.amdhsa_system_sgpr_workgroup_info 0
		.amdhsa_system_vgpr_workitem_id 0
		.amdhsa_next_free_vgpr 25
		.amdhsa_next_free_sgpr 50
		.amdhsa_accum_offset 28
		.amdhsa_reserve_vcc 1
		.amdhsa_float_round_mode_32 0
		.amdhsa_float_round_mode_16_64 0
		.amdhsa_float_denorm_mode_32 3
		.amdhsa_float_denorm_mode_16_64 3
		.amdhsa_dx10_clamp 1
		.amdhsa_ieee_mode 1
		.amdhsa_fp16_overflow 0
		.amdhsa_tg_split 0
		.amdhsa_exception_fp_ieee_invalid_op 0
		.amdhsa_exception_fp_denorm_src 0
		.amdhsa_exception_fp_ieee_div_zero 0
		.amdhsa_exception_fp_ieee_overflow 0
		.amdhsa_exception_fp_ieee_underflow 0
		.amdhsa_exception_fp_ieee_inexact 0
		.amdhsa_exception_int_div_zero 0
	.end_amdhsa_kernel
	.section	.text._ZN9rocsparseL20kernel_calculate_cooILi1024ELi32ELb1EdiiEEvT4_T3_PKS1_S4_PKT2_21rocsparse_index_base_PKS2_SA_S4_SA_SA_S4_SA_PS5_PNS_15floating_traitsIS5_E6data_tEPKSE_,"axG",@progbits,_ZN9rocsparseL20kernel_calculate_cooILi1024ELi32ELb1EdiiEEvT4_T3_PKS1_S4_PKT2_21rocsparse_index_base_PKS2_SA_S4_SA_SA_S4_SA_PS5_PNS_15floating_traitsIS5_E6data_tEPKSE_,comdat
.Lfunc_end18:
	.size	_ZN9rocsparseL20kernel_calculate_cooILi1024ELi32ELb1EdiiEEvT4_T3_PKS1_S4_PKT2_21rocsparse_index_base_PKS2_SA_S4_SA_SA_S4_SA_PS5_PNS_15floating_traitsIS5_E6data_tEPKSE_, .Lfunc_end18-_ZN9rocsparseL20kernel_calculate_cooILi1024ELi32ELb1EdiiEEvT4_T3_PKS1_S4_PKT2_21rocsparse_index_base_PKS2_SA_S4_SA_SA_S4_SA_PS5_PNS_15floating_traitsIS5_E6data_tEPKSE_
                                        ; -- End function
	.set _ZN9rocsparseL20kernel_calculate_cooILi1024ELi32ELb1EdiiEEvT4_T3_PKS1_S4_PKT2_21rocsparse_index_base_PKS2_SA_S4_SA_SA_S4_SA_PS5_PNS_15floating_traitsIS5_E6data_tEPKSE_.num_vgpr, 25
	.set _ZN9rocsparseL20kernel_calculate_cooILi1024ELi32ELb1EdiiEEvT4_T3_PKS1_S4_PKT2_21rocsparse_index_base_PKS2_SA_S4_SA_SA_S4_SA_PS5_PNS_15floating_traitsIS5_E6data_tEPKSE_.num_agpr, 0
	.set _ZN9rocsparseL20kernel_calculate_cooILi1024ELi32ELb1EdiiEEvT4_T3_PKS1_S4_PKT2_21rocsparse_index_base_PKS2_SA_S4_SA_SA_S4_SA_PS5_PNS_15floating_traitsIS5_E6data_tEPKSE_.numbered_sgpr, 50
	.set _ZN9rocsparseL20kernel_calculate_cooILi1024ELi32ELb1EdiiEEvT4_T3_PKS1_S4_PKT2_21rocsparse_index_base_PKS2_SA_S4_SA_SA_S4_SA_PS5_PNS_15floating_traitsIS5_E6data_tEPKSE_.num_named_barrier, 0
	.set _ZN9rocsparseL20kernel_calculate_cooILi1024ELi32ELb1EdiiEEvT4_T3_PKS1_S4_PKT2_21rocsparse_index_base_PKS2_SA_S4_SA_SA_S4_SA_PS5_PNS_15floating_traitsIS5_E6data_tEPKSE_.private_seg_size, 0
	.set _ZN9rocsparseL20kernel_calculate_cooILi1024ELi32ELb1EdiiEEvT4_T3_PKS1_S4_PKT2_21rocsparse_index_base_PKS2_SA_S4_SA_SA_S4_SA_PS5_PNS_15floating_traitsIS5_E6data_tEPKSE_.uses_vcc, 1
	.set _ZN9rocsparseL20kernel_calculate_cooILi1024ELi32ELb1EdiiEEvT4_T3_PKS1_S4_PKT2_21rocsparse_index_base_PKS2_SA_S4_SA_SA_S4_SA_PS5_PNS_15floating_traitsIS5_E6data_tEPKSE_.uses_flat_scratch, 0
	.set _ZN9rocsparseL20kernel_calculate_cooILi1024ELi32ELb1EdiiEEvT4_T3_PKS1_S4_PKT2_21rocsparse_index_base_PKS2_SA_S4_SA_SA_S4_SA_PS5_PNS_15floating_traitsIS5_E6data_tEPKSE_.has_dyn_sized_stack, 0
	.set _ZN9rocsparseL20kernel_calculate_cooILi1024ELi32ELb1EdiiEEvT4_T3_PKS1_S4_PKT2_21rocsparse_index_base_PKS2_SA_S4_SA_SA_S4_SA_PS5_PNS_15floating_traitsIS5_E6data_tEPKSE_.has_recursion, 0
	.set _ZN9rocsparseL20kernel_calculate_cooILi1024ELi32ELb1EdiiEEvT4_T3_PKS1_S4_PKT2_21rocsparse_index_base_PKS2_SA_S4_SA_SA_S4_SA_PS5_PNS_15floating_traitsIS5_E6data_tEPKSE_.has_indirect_call, 0
	.section	.AMDGPU.csdata,"",@progbits
; Kernel info:
; codeLenInByte = 1948
; TotalNumSgprs: 56
; NumVgprs: 25
; NumAgprs: 0
; TotalNumVgprs: 25
; ScratchSize: 0
; MemoryBound: 1
; FloatMode: 240
; IeeeMode: 1
; LDSByteSize: 256 bytes/workgroup (compile time only)
; SGPRBlocks: 6
; VGPRBlocks: 3
; NumSGPRsForWavesPerEU: 56
; NumVGPRsForWavesPerEU: 25
; AccumOffset: 28
; Occupancy: 8
; WaveLimiterHint : 1
; COMPUTE_PGM_RSRC2:SCRATCH_EN: 0
; COMPUTE_PGM_RSRC2:USER_SGPR: 2
; COMPUTE_PGM_RSRC2:TRAP_HANDLER: 0
; COMPUTE_PGM_RSRC2:TGID_X_EN: 1
; COMPUTE_PGM_RSRC2:TGID_Y_EN: 0
; COMPUTE_PGM_RSRC2:TGID_Z_EN: 0
; COMPUTE_PGM_RSRC2:TIDIG_COMP_CNT: 0
; COMPUTE_PGM_RSRC3_GFX90A:ACCUM_OFFSET: 6
; COMPUTE_PGM_RSRC3_GFX90A:TG_SPLIT: 0
	.section	.text._ZN9rocsparseL20kernel_calculate_cooILi1024ELi64ELb1EdiiEEvT4_T3_PKS1_S4_PKT2_21rocsparse_index_base_PKS2_SA_S4_SA_SA_S4_SA_PS5_PNS_15floating_traitsIS5_E6data_tEPKSE_,"axG",@progbits,_ZN9rocsparseL20kernel_calculate_cooILi1024ELi64ELb1EdiiEEvT4_T3_PKS1_S4_PKT2_21rocsparse_index_base_PKS2_SA_S4_SA_SA_S4_SA_PS5_PNS_15floating_traitsIS5_E6data_tEPKSE_,comdat
	.globl	_ZN9rocsparseL20kernel_calculate_cooILi1024ELi64ELb1EdiiEEvT4_T3_PKS1_S4_PKT2_21rocsparse_index_base_PKS2_SA_S4_SA_SA_S4_SA_PS5_PNS_15floating_traitsIS5_E6data_tEPKSE_ ; -- Begin function _ZN9rocsparseL20kernel_calculate_cooILi1024ELi64ELb1EdiiEEvT4_T3_PKS1_S4_PKT2_21rocsparse_index_base_PKS2_SA_S4_SA_SA_S4_SA_PS5_PNS_15floating_traitsIS5_E6data_tEPKSE_
	.p2align	8
	.type	_ZN9rocsparseL20kernel_calculate_cooILi1024ELi64ELb1EdiiEEvT4_T3_PKS1_S4_PKT2_21rocsparse_index_base_PKS2_SA_S4_SA_SA_S4_SA_PS5_PNS_15floating_traitsIS5_E6data_tEPKSE_,@function
_ZN9rocsparseL20kernel_calculate_cooILi1024ELi64ELb1EdiiEEvT4_T3_PKS1_S4_PKT2_21rocsparse_index_base_PKS2_SA_S4_SA_SA_S4_SA_PS5_PNS_15floating_traitsIS5_E6data_tEPKSE_: ; @_ZN9rocsparseL20kernel_calculate_cooILi1024ELi64ELb1EdiiEEvT4_T3_PKS1_S4_PKT2_21rocsparse_index_base_PKS2_SA_S4_SA_SA_S4_SA_PS5_PNS_15floating_traitsIS5_E6data_tEPKSE_
; %bb.0:
	s_load_dword s33, s[0:1], 0x4
	v_lshl_or_b32 v4, s2, 16, v0
	v_mov_b64_e32 v[2:3], 0
	s_waitcnt lgkmcnt(0)
	v_cmp_gt_i32_e32 vcc, s33, v4
	s_and_saveexec_b64 s[24:25], vcc
	s_cbranch_execz .LBB19_29
; %bb.1:
	s_load_dwordx8 s[4:11], s[0:1], 0x48
	s_load_dwordx4 s[20:23], s[0:1], 0x8
	s_load_dwordx2 s[26:27], s[0:1], 0x18
	s_load_dwordx8 s[12:19], s[0:1], 0x28
	s_load_dword s44, s[0:1], 0x20
	s_mov_b32 s28, 0
	v_mov_b64_e32 v[2:3], 0
	s_mov_b32 s45, 0
	s_mov_b32 s29, 0x7ff00000
	s_movk_i32 s46, 0x1f8
	s_branch .LBB19_4
.LBB19_2:                               ;   in Loop: Header=BB19_4 Depth=1
	s_or_b64 exec, exec, s[36:37]
	v_and_b32_e32 v1, 0x7fffffff, v7
	s_or_b64 vcc, s[2:3], s[34:35]
	v_cndmask_b32_e32 v3, v1, v3, vcc
	v_cndmask_b32_e32 v2, v6, v2, vcc
.LBB19_3:                               ;   in Loop: Header=BB19_4 Depth=1
	s_or_b64 exec, exec, s[30:31]
	s_add_i32 s45, s45, 1
	s_cmp_lg_u32 s45, 64
	v_add_u32_e32 v4, 0x400, v4
	s_cbranch_scc0 .LBB19_29
.LBB19_4:                               ; =>This Loop Header: Depth=1
                                        ;     Child Loop BB19_8 Depth 2
                                        ;     Child Loop BB19_14 Depth 2
	;; [unrolled: 1-line block ×3, first 2 shown]
	v_cmp_gt_i32_e32 vcc, s33, v4
	s_and_saveexec_b64 s[30:31], vcc
	s_cbranch_execz .LBB19_3
; %bb.5:                                ;   in Loop: Header=BB19_4 Depth=1
	v_ashrrev_i32_e32 v5, 31, v4
	v_lshlrev_b64 v[6:7], 2, v[4:5]
	s_waitcnt lgkmcnt(0)
	v_lshl_add_u64 v[8:9], s[22:23], 0, v[6:7]
	global_load_dword v1, v[8:9], off
	v_lshl_add_u64 v[6:7], s[20:21], 0, v[6:7]
	global_load_dword v22, v[6:7], off
	s_waitcnt vmcnt(1)
	v_subrev_u32_e32 v6, s44, v1
	v_ashrrev_i32_e32 v7, 31, v6
	v_lshlrev_b64 v[6:7], 2, v[6:7]
	v_lshl_add_u64 v[8:9], s[14:15], 0, v[6:7]
	global_load_dword v14, v[8:9], off
	s_waitcnt vmcnt(1)
	v_subrev_u32_e32 v8, s44, v22
	v_ashrrev_i32_e32 v9, 31, v8
	v_lshlrev_b64 v[8:9], 2, v[8:9]
	v_lshl_add_u64 v[10:11], s[14:15], 0, v[8:9]
	v_lshl_add_u64 v[12:13], s[4:5], 0, v[6:7]
	;; [unrolled: 1-line block ×4, first 2 shown]
	global_load_dword v15, v[10:11], off
	v_lshl_add_u64 v[10:11], v[4:5], 3, s[26:27]
	global_load_dword v13, v[12:13], off
	s_waitcnt vmcnt(1)
	v_subrev_u32_e32 v23, s44, v15
	global_load_dword v17, v[8:9], off
	global_load_dword v18, v[6:7], off
	s_nop 0
	global_load_dwordx2 v[8:9], v[10:11], off
	v_subrev_u32_e32 v6, s44, v14
	v_ashrrev_i32_e32 v7, 31, v6
	v_lshl_add_u64 v[6:7], v[6:7], 3, s[10:11]
	global_load_dwordx2 v[6:7], v[6:7], off
	s_waitcnt vmcnt(4)
	v_subrev_u32_e32 v24, s44, v13
	v_mov_b64_e32 v[10:11], 0
	s_waitcnt vmcnt(3)
	v_cmp_lt_i32_e32 vcc, v17, v15
	s_waitcnt vmcnt(2)
	v_cmp_lt_i32_e64 s[2:3], v18, v13
	v_subrev_u32_e32 v12, s44, v17
	v_subrev_u32_e32 v16, s44, v18
	s_and_b64 s[2:3], vcc, s[2:3]
	s_and_saveexec_b64 s[34:35], s[2:3]
	s_cbranch_execz .LBB19_11
; %bb.6:                                ;   in Loop: Header=BB19_4 Depth=1
	v_mov_b64_e32 v[10:11], 0
	s_mov_b64 s[36:37], 0
	s_branch .LBB19_8
.LBB19_7:                               ;   in Loop: Header=BB19_8 Depth=2
	s_or_b64 exec, exec, s[2:3]
	v_cmp_le_i32_e32 vcc, v14, v15
	s_nop 1
	v_addc_co_u32_e32 v12, vcc, 0, v12, vcc
	v_cmp_ge_i32_e32 vcc, v14, v15
	s_nop 1
	v_addc_co_u32_e32 v16, vcc, 0, v16, vcc
	v_cmp_ge_i32_e32 vcc, v12, v23
	v_cmp_ge_i32_e64 s[2:3], v16, v24
	s_or_b64 s[2:3], vcc, s[2:3]
	s_and_b64 s[2:3], exec, s[2:3]
	s_or_b64 s[36:37], s[2:3], s[36:37]
	s_andn2_b64 exec, exec, s[36:37]
	s_cbranch_execz .LBB19_10
.LBB19_8:                               ;   Parent Loop BB19_4 Depth=1
                                        ; =>  This Inner Loop Header: Depth=2
	v_ashrrev_i32_e32 v13, 31, v12
	v_ashrrev_i32_e32 v17, 31, v16
	v_lshl_add_u64 v[14:15], v[12:13], 2, s[16:17]
	v_lshl_add_u64 v[18:19], v[16:17], 2, s[6:7]
	global_load_dword v14, v[14:15], off
	s_nop 0
	global_load_dword v15, v[18:19], off
	s_waitcnt vmcnt(0)
	v_cmp_eq_u32_e32 vcc, v14, v15
	s_and_saveexec_b64 s[2:3], vcc
	s_cbranch_execz .LBB19_7
; %bb.9:                                ;   in Loop: Header=BB19_8 Depth=2
	v_lshl_add_u64 v[18:19], v[16:17], 2, s[8:9]
	global_load_dword v18, v[18:19], off
	v_lshl_add_u64 v[20:21], v[12:13], 3, s[10:11]
	global_load_dwordx2 v[20:21], v[20:21], off
	s_waitcnt vmcnt(1)
	v_ashrrev_i32_e32 v19, 31, v18
	v_lshl_add_u64 v[18:19], v[18:19], 3, s[10:11]
	global_load_dwordx2 v[18:19], v[18:19], off
	s_waitcnt vmcnt(0)
	v_fmac_f64_e32 v[10:11], v[20:21], v[18:19]
	s_branch .LBB19_7
.LBB19_10:                              ;   in Loop: Header=BB19_4 Depth=1
	s_or_b64 exec, exec, s[36:37]
.LBB19_11:                              ;   in Loop: Header=BB19_4 Depth=1
	s_or_b64 exec, exec, s[34:35]
	s_waitcnt vmcnt(1)
	v_add_f64 v[14:15], v[10:11], -v[8:9]
	v_cmp_lt_i32_e32 vcc, v16, v24
	s_and_saveexec_b64 s[2:3], vcc
	s_cbranch_execz .LBB19_19
; %bb.12:                               ;   in Loop: Header=BB19_4 Depth=1
	v_ashrrev_i32_e32 v17, 31, v16
	v_lshl_add_u64 v[18:19], v[16:17], 2, s[6:7]
	s_mov_b64 s[34:35], 0
                                        ; implicit-def: $sgpr36_sgpr37
                                        ; implicit-def: $sgpr40_sgpr41
                                        ; implicit-def: $sgpr38_sgpr39
	s_branch .LBB19_14
.LBB19_13:                              ;   in Loop: Header=BB19_14 Depth=2
	s_or_b64 exec, exec, s[42:43]
	s_and_b64 s[42:43], exec, s[40:41]
	s_or_b64 s[34:35], s[42:43], s[34:35]
	s_andn2_b64 s[36:37], s[36:37], exec
	s_and_b64 s[42:43], s[38:39], exec
	s_or_b64 s[36:37], s[36:37], s[42:43]
	s_andn2_b64 exec, exec, s[34:35]
	s_cbranch_execz .LBB19_16
.LBB19_14:                              ;   Parent Loop BB19_4 Depth=1
                                        ; =>  This Inner Loop Header: Depth=2
	global_load_dword v13, v[18:19], off
	v_mov_b64_e32 v[20:21], v[16:17]
	s_or_b64 s[38:39], s[38:39], exec
	s_or_b64 s[40:41], s[40:41], exec
                                        ; implicit-def: $vgpr16_vgpr17
	s_waitcnt vmcnt(0)
	v_cmp_ne_u32_e32 vcc, v13, v22
	s_and_saveexec_b64 s[42:43], vcc
	s_cbranch_execz .LBB19_13
; %bb.15:                               ;   in Loop: Header=BB19_14 Depth=2
	v_lshl_add_u64 v[16:17], v[20:21], 0, 1
	v_cmp_ge_i32_e32 vcc, v16, v24
	s_andn2_b64 s[40:41], s[40:41], exec
	s_and_b64 s[48:49], vcc, exec
	v_lshl_add_u64 v[18:19], v[18:19], 0, 4
	s_andn2_b64 s[38:39], s[38:39], exec
	s_or_b64 s[40:41], s[40:41], s[48:49]
	s_branch .LBB19_13
.LBB19_16:                              ;   in Loop: Header=BB19_4 Depth=1
	s_or_b64 exec, exec, s[34:35]
	s_and_saveexec_b64 s[34:35], s[36:37]
	s_xor_b64 s[34:35], exec, s[34:35]
	s_cbranch_execz .LBB19_18
; %bb.17:                               ;   in Loop: Header=BB19_4 Depth=1
	v_lshl_add_u64 v[16:17], v[20:21], 2, s[8:9]
	global_load_dword v16, v[16:17], off
	s_waitcnt vmcnt(0)
	v_ashrrev_i32_e32 v17, 31, v16
	v_lshl_add_u64 v[16:17], v[16:17], 3, s[10:11]
	global_load_dwordx2 v[16:17], v[16:17], off
	s_waitcnt vmcnt(0)
	v_add_f64 v[14:15], v[14:15], v[16:17]
.LBB19_18:                              ;   in Loop: Header=BB19_4 Depth=1
	s_or_b64 exec, exec, s[34:35]
.LBB19_19:                              ;   in Loop: Header=BB19_4 Depth=1
	s_or_b64 exec, exec, s[2:3]
	v_cmp_lt_i32_e32 vcc, v12, v23
	s_and_saveexec_b64 s[2:3], vcc
	s_cbranch_execz .LBB19_27
; %bb.20:                               ;   in Loop: Header=BB19_4 Depth=1
	v_ashrrev_i32_e32 v13, 31, v12
	v_lshl_add_u64 v[16:17], v[12:13], 2, s[16:17]
	s_mov_b64 s[34:35], 0
                                        ; implicit-def: $sgpr36_sgpr37
                                        ; implicit-def: $sgpr40_sgpr41
                                        ; implicit-def: $sgpr38_sgpr39
	s_branch .LBB19_22
.LBB19_21:                              ;   in Loop: Header=BB19_22 Depth=2
	s_or_b64 exec, exec, s[42:43]
	s_and_b64 s[42:43], exec, s[40:41]
	s_or_b64 s[34:35], s[42:43], s[34:35]
	s_andn2_b64 s[36:37], s[36:37], exec
	s_and_b64 s[42:43], s[38:39], exec
	s_or_b64 s[36:37], s[36:37], s[42:43]
	s_andn2_b64 exec, exec, s[34:35]
	s_cbranch_execz .LBB19_24
.LBB19_22:                              ;   Parent Loop BB19_4 Depth=1
                                        ; =>  This Inner Loop Header: Depth=2
	global_load_dword v20, v[16:17], off
	v_mov_b64_e32 v[18:19], v[12:13]
	s_or_b64 s[38:39], s[38:39], exec
	s_or_b64 s[40:41], s[40:41], exec
                                        ; implicit-def: $vgpr12_vgpr13
	s_waitcnt vmcnt(0)
	v_cmp_ne_u32_e32 vcc, v20, v1
	s_and_saveexec_b64 s[42:43], vcc
	s_cbranch_execz .LBB19_21
; %bb.23:                               ;   in Loop: Header=BB19_22 Depth=2
	v_lshl_add_u64 v[12:13], v[18:19], 0, 1
	v_cmp_ge_i32_e32 vcc, v12, v23
	s_andn2_b64 s[40:41], s[40:41], exec
	s_and_b64 s[48:49], vcc, exec
	v_lshl_add_u64 v[16:17], v[16:17], 0, 4
	s_andn2_b64 s[38:39], s[38:39], exec
	s_or_b64 s[40:41], s[40:41], s[48:49]
	s_branch .LBB19_21
.LBB19_24:                              ;   in Loop: Header=BB19_4 Depth=1
	s_or_b64 exec, exec, s[34:35]
	s_and_saveexec_b64 s[34:35], s[36:37]
	s_xor_b64 s[34:35], exec, s[34:35]
	s_cbranch_execz .LBB19_26
; %bb.25:                               ;   in Loop: Header=BB19_4 Depth=1
	v_lshl_add_u64 v[12:13], v[18:19], 3, s[10:11]
	global_load_dwordx2 v[12:13], v[12:13], off
	s_waitcnt vmcnt(0)
	v_fmac_f64_e32 v[14:15], v[12:13], v[6:7]
.LBB19_26:                              ;   in Loop: Header=BB19_4 Depth=1
	s_or_b64 exec, exec, s[34:35]
.LBB19_27:                              ;   in Loop: Header=BB19_4 Depth=1
	s_or_b64 exec, exec, s[2:3]
	v_add_f64 v[8:9], v[8:9], -v[10:11]
	s_waitcnt vmcnt(0)
	v_div_scale_f64 v[10:11], s[2:3], v[6:7], v[6:7], v[8:9]
	v_rcp_f64_e32 v[12:13], v[10:11]
	v_div_scale_f64 v[16:17], vcc, v[8:9], v[6:7], v[8:9]
	v_fma_f64 v[18:19], -v[10:11], v[12:13], 1.0
	v_fmac_f64_e32 v[12:13], v[12:13], v[18:19]
	v_fma_f64 v[18:19], -v[10:11], v[12:13], 1.0
	v_fmac_f64_e32 v[12:13], v[12:13], v[18:19]
	v_mul_f64 v[18:19], v[16:17], v[12:13]
	v_fma_f64 v[10:11], -v[10:11], v[18:19], v[16:17]
	v_div_fmas_f64 v[10:11], v[10:11], v[12:13], v[18:19]
	v_div_fixup_f64 v[10:11], v[10:11], v[6:7], v[8:9]
	v_cmp_gt_i32_e32 vcc, v22, v1
	v_add_f64 v[6:7], v[6:7], v[14:15]
	s_nop 0
	v_cndmask_b32_e32 v9, v9, v11, vcc
	v_cndmask_b32_e32 v8, v8, v10, vcc
	v_cmp_eq_u32_e32 vcc, v22, v1
	v_cmp_class_f64_e64 s[38:39], v[8:9], s46
	s_nop 0
	v_cndmask_b32_e32 v7, v15, v7, vcc
	v_cndmask_b32_e32 v6, v14, v6, vcc
	v_cmp_nlg_f64_e64 s[2:3], |v[6:7]|, s[28:29]
	v_cmp_gt_f64_e64 s[34:35], v[2:3], |v[6:7]|
	s_and_saveexec_b64 s[36:37], s[38:39]
	s_cbranch_execz .LBB19_2
; %bb.28:                               ;   in Loop: Header=BB19_4 Depth=1
	v_lshl_add_u64 v[10:11], v[4:5], 3, s[10:11]
	global_store_dwordx2 v[10:11], v[8:9], off
	s_branch .LBB19_2
.LBB19_29:
	s_or_b64 exec, exec, s[24:25]
	v_mov_b32_dpp v4, v2 row_shr:1 row_mask:0xf bank_mask:0xf
	v_mov_b32_dpp v5, v3 row_shr:1 row_mask:0xf bank_mask:0xf
	v_cmp_lt_f64_e32 vcc, v[2:3], v[4:5]
	v_and_b32_e32 v1, 63, v0
	s_nop 0
	v_cndmask_b32_e32 v3, v3, v5, vcc
	v_cndmask_b32_e32 v2, v2, v4, vcc
	s_nop 0
	v_mov_b32_dpp v5, v3 row_shr:2 row_mask:0xf bank_mask:0xf
	v_mov_b32_dpp v4, v2 row_shr:2 row_mask:0xf bank_mask:0xf
	v_cmp_lt_f64_e32 vcc, v[2:3], v[4:5]
	s_nop 1
	v_cndmask_b32_e32 v3, v3, v5, vcc
	v_cndmask_b32_e32 v2, v2, v4, vcc
	s_nop 0
	v_mov_b32_dpp v5, v3 row_shr:4 row_mask:0xf bank_mask:0xe
	v_mov_b32_dpp v4, v2 row_shr:4 row_mask:0xf bank_mask:0xe
	v_cmp_lt_f64_e32 vcc, v[2:3], v[4:5]
	;; [unrolled: 7-line block ×3, first 2 shown]
	s_nop 1
	v_cndmask_b32_e32 v3, v3, v5, vcc
	v_cndmask_b32_e32 v2, v2, v4, vcc
	s_nop 0
	v_mov_b32_dpp v5, v3 row_bcast:15 row_mask:0xa bank_mask:0xf
	v_mov_b32_dpp v4, v2 row_bcast:15 row_mask:0xa bank_mask:0xf
	v_cmp_lt_f64_e32 vcc, v[2:3], v[4:5]
	s_nop 1
	v_cndmask_b32_e32 v3, v3, v5, vcc
	v_cndmask_b32_e32 v2, v2, v4, vcc
	v_cmp_eq_u32_e32 vcc, 63, v1
	v_mov_b32_dpp v6, v3 row_bcast:31 row_mask:0xc bank_mask:0xf
	v_mov_b32_dpp v4, v2 row_bcast:31 row_mask:0xc bank_mask:0xf
	s_and_saveexec_b64 s[2:3], vcc
	s_cbranch_execz .LBB19_31
; %bb.30:
	v_mov_b32_e32 v5, v6
	v_lshrrev_b32_e32 v1, 3, v0
	v_cmp_lt_f64_e32 vcc, v[2:3], v[4:5]
	v_and_b32_e32 v1, 0x78, v1
	s_nop 0
	v_cndmask_b32_e32 v3, v3, v6, vcc
	v_cndmask_b32_e32 v2, v2, v4, vcc
	ds_write_b64 v1, v[2:3]
.LBB19_31:
	s_or_b64 exec, exec, s[2:3]
	v_cmp_gt_u32_e32 vcc, 8, v0
	v_lshlrev_b32_e32 v1, 3, v0
	s_waitcnt lgkmcnt(0)
	s_barrier
	s_and_saveexec_b64 s[2:3], vcc
	s_cbranch_execz .LBB19_33
; %bb.32:
	ds_read2_b64 v[2:5], v1 offset1:8
	s_waitcnt lgkmcnt(0)
	v_cmp_lt_f64_e32 vcc, v[2:3], v[4:5]
	s_nop 1
	v_cndmask_b32_e32 v3, v3, v5, vcc
	v_cndmask_b32_e32 v2, v2, v4, vcc
	ds_write_b64 v1, v[2:3]
.LBB19_33:
	s_or_b64 exec, exec, s[2:3]
	v_cmp_gt_u32_e32 vcc, 4, v0
	s_waitcnt lgkmcnt(0)
	s_barrier
	s_and_saveexec_b64 s[2:3], vcc
	s_cbranch_execz .LBB19_35
; %bb.34:
	ds_read2_b64 v[2:5], v1 offset1:4
	s_waitcnt lgkmcnt(0)
	v_cmp_lt_f64_e32 vcc, v[2:3], v[4:5]
	s_nop 1
	v_cndmask_b32_e32 v3, v3, v5, vcc
	v_cndmask_b32_e32 v2, v2, v4, vcc
	ds_write_b64 v1, v[2:3]
.LBB19_35:
	s_or_b64 exec, exec, s[2:3]
	v_cmp_gt_u32_e32 vcc, 2, v0
	s_waitcnt lgkmcnt(0)
	s_barrier
	s_and_saveexec_b64 s[2:3], vcc
	s_cbranch_execz .LBB19_37
; %bb.36:
	ds_read2_b64 v[2:5], v1 offset1:2
	s_waitcnt lgkmcnt(0)
	v_cmp_lt_f64_e32 vcc, v[2:3], v[4:5]
	s_nop 1
	v_cndmask_b32_e32 v3, v3, v5, vcc
	v_cndmask_b32_e32 v2, v2, v4, vcc
	ds_write_b64 v1, v[2:3]
.LBB19_37:
	s_or_b64 exec, exec, s[2:3]
	v_cmp_eq_u32_e32 vcc, 0, v0
	s_waitcnt lgkmcnt(0)
	s_barrier
	s_and_saveexec_b64 s[4:5], vcc
	s_cbranch_execz .LBB19_39
; %bb.38:
	v_mov_b32_e32 v4, 0
	ds_read_b128 v[0:3], v4
	s_waitcnt lgkmcnt(0)
	v_cmp_lt_f64_e64 s[2:3], v[0:1], v[2:3]
	s_nop 1
	v_cndmask_b32_e64 v1, v1, v3, s[2:3]
	v_cndmask_b32_e64 v0, v0, v2, s[2:3]
	ds_write_b64 v4, v[0:1]
.LBB19_39:
	s_or_b64 exec, exec, s[4:5]
	s_waitcnt lgkmcnt(0)
	s_barrier
	s_and_saveexec_b64 s[2:3], vcc
	s_cbranch_execz .LBB19_42
; %bb.40:
	v_mbcnt_lo_u32_b32 v0, exec_lo, 0
	v_mbcnt_hi_u32_b32 v0, exec_hi, v0
	v_cmp_eq_u32_e32 vcc, 0, v0
	s_and_b64 exec, exec, vcc
	s_cbranch_execz .LBB19_42
; %bb.41:
	s_load_dwordx4 s[4:7], s[0:1], 0x68
	v_mov_b32_e32 v10, 0
	ds_read_b64 v[0:1], v10
	s_waitcnt lgkmcnt(0)
	s_load_dwordx2 s[0:1], s[6:7], 0x0
	s_waitcnt lgkmcnt(0)
	v_div_scale_f64 v[2:3], s[2:3], s[0:1], s[0:1], v[0:1]
	v_rcp_f64_e32 v[4:5], v[2:3]
	v_div_scale_f64 v[6:7], vcc, v[0:1], s[0:1], v[0:1]
	v_fma_f64 v[8:9], -v[2:3], v[4:5], 1.0
	v_fmac_f64_e32 v[4:5], v[4:5], v[8:9]
	v_fma_f64 v[8:9], -v[2:3], v[4:5], 1.0
	v_fmac_f64_e32 v[4:5], v[4:5], v[8:9]
	v_mul_f64 v[8:9], v[6:7], v[4:5]
	v_fma_f64 v[2:3], -v[2:3], v[8:9], v[6:7]
	v_div_fmas_f64 v[2:3], v[2:3], v[4:5], v[8:9]
	v_div_fixup_f64 v[0:1], v[2:3], s[0:1], v[0:1]
	global_atomic_max_f64 v10, v[0:1], s[4:5]
.LBB19_42:
	s_endpgm
	.section	.rodata,"a",@progbits
	.p2align	6, 0x0
	.amdhsa_kernel _ZN9rocsparseL20kernel_calculate_cooILi1024ELi64ELb1EdiiEEvT4_T3_PKS1_S4_PKT2_21rocsparse_index_base_PKS2_SA_S4_SA_SA_S4_SA_PS5_PNS_15floating_traitsIS5_E6data_tEPKSE_
		.amdhsa_group_segment_fixed_size 128
		.amdhsa_private_segment_fixed_size 0
		.amdhsa_kernarg_size 120
		.amdhsa_user_sgpr_count 2
		.amdhsa_user_sgpr_dispatch_ptr 0
		.amdhsa_user_sgpr_queue_ptr 0
		.amdhsa_user_sgpr_kernarg_segment_ptr 1
		.amdhsa_user_sgpr_dispatch_id 0
		.amdhsa_user_sgpr_kernarg_preload_length 0
		.amdhsa_user_sgpr_kernarg_preload_offset 0
		.amdhsa_user_sgpr_private_segment_size 0
		.amdhsa_uses_dynamic_stack 0
		.amdhsa_enable_private_segment 0
		.amdhsa_system_sgpr_workgroup_id_x 1
		.amdhsa_system_sgpr_workgroup_id_y 0
		.amdhsa_system_sgpr_workgroup_id_z 0
		.amdhsa_system_sgpr_workgroup_info 0
		.amdhsa_system_vgpr_workitem_id 0
		.amdhsa_next_free_vgpr 25
		.amdhsa_next_free_sgpr 50
		.amdhsa_accum_offset 28
		.amdhsa_reserve_vcc 1
		.amdhsa_float_round_mode_32 0
		.amdhsa_float_round_mode_16_64 0
		.amdhsa_float_denorm_mode_32 3
		.amdhsa_float_denorm_mode_16_64 3
		.amdhsa_dx10_clamp 1
		.amdhsa_ieee_mode 1
		.amdhsa_fp16_overflow 0
		.amdhsa_tg_split 0
		.amdhsa_exception_fp_ieee_invalid_op 0
		.amdhsa_exception_fp_denorm_src 0
		.amdhsa_exception_fp_ieee_div_zero 0
		.amdhsa_exception_fp_ieee_overflow 0
		.amdhsa_exception_fp_ieee_underflow 0
		.amdhsa_exception_fp_ieee_inexact 0
		.amdhsa_exception_int_div_zero 0
	.end_amdhsa_kernel
	.section	.text._ZN9rocsparseL20kernel_calculate_cooILi1024ELi64ELb1EdiiEEvT4_T3_PKS1_S4_PKT2_21rocsparse_index_base_PKS2_SA_S4_SA_SA_S4_SA_PS5_PNS_15floating_traitsIS5_E6data_tEPKSE_,"axG",@progbits,_ZN9rocsparseL20kernel_calculate_cooILi1024ELi64ELb1EdiiEEvT4_T3_PKS1_S4_PKT2_21rocsparse_index_base_PKS2_SA_S4_SA_SA_S4_SA_PS5_PNS_15floating_traitsIS5_E6data_tEPKSE_,comdat
.Lfunc_end19:
	.size	_ZN9rocsparseL20kernel_calculate_cooILi1024ELi64ELb1EdiiEEvT4_T3_PKS1_S4_PKT2_21rocsparse_index_base_PKS2_SA_S4_SA_SA_S4_SA_PS5_PNS_15floating_traitsIS5_E6data_tEPKSE_, .Lfunc_end19-_ZN9rocsparseL20kernel_calculate_cooILi1024ELi64ELb1EdiiEEvT4_T3_PKS1_S4_PKT2_21rocsparse_index_base_PKS2_SA_S4_SA_SA_S4_SA_PS5_PNS_15floating_traitsIS5_E6data_tEPKSE_
                                        ; -- End function
	.set _ZN9rocsparseL20kernel_calculate_cooILi1024ELi64ELb1EdiiEEvT4_T3_PKS1_S4_PKT2_21rocsparse_index_base_PKS2_SA_S4_SA_SA_S4_SA_PS5_PNS_15floating_traitsIS5_E6data_tEPKSE_.num_vgpr, 25
	.set _ZN9rocsparseL20kernel_calculate_cooILi1024ELi64ELb1EdiiEEvT4_T3_PKS1_S4_PKT2_21rocsparse_index_base_PKS2_SA_S4_SA_SA_S4_SA_PS5_PNS_15floating_traitsIS5_E6data_tEPKSE_.num_agpr, 0
	.set _ZN9rocsparseL20kernel_calculate_cooILi1024ELi64ELb1EdiiEEvT4_T3_PKS1_S4_PKT2_21rocsparse_index_base_PKS2_SA_S4_SA_SA_S4_SA_PS5_PNS_15floating_traitsIS5_E6data_tEPKSE_.numbered_sgpr, 50
	.set _ZN9rocsparseL20kernel_calculate_cooILi1024ELi64ELb1EdiiEEvT4_T3_PKS1_S4_PKT2_21rocsparse_index_base_PKS2_SA_S4_SA_SA_S4_SA_PS5_PNS_15floating_traitsIS5_E6data_tEPKSE_.num_named_barrier, 0
	.set _ZN9rocsparseL20kernel_calculate_cooILi1024ELi64ELb1EdiiEEvT4_T3_PKS1_S4_PKT2_21rocsparse_index_base_PKS2_SA_S4_SA_SA_S4_SA_PS5_PNS_15floating_traitsIS5_E6data_tEPKSE_.private_seg_size, 0
	.set _ZN9rocsparseL20kernel_calculate_cooILi1024ELi64ELb1EdiiEEvT4_T3_PKS1_S4_PKT2_21rocsparse_index_base_PKS2_SA_S4_SA_SA_S4_SA_PS5_PNS_15floating_traitsIS5_E6data_tEPKSE_.uses_vcc, 1
	.set _ZN9rocsparseL20kernel_calculate_cooILi1024ELi64ELb1EdiiEEvT4_T3_PKS1_S4_PKT2_21rocsparse_index_base_PKS2_SA_S4_SA_SA_S4_SA_PS5_PNS_15floating_traitsIS5_E6data_tEPKSE_.uses_flat_scratch, 0
	.set _ZN9rocsparseL20kernel_calculate_cooILi1024ELi64ELb1EdiiEEvT4_T3_PKS1_S4_PKT2_21rocsparse_index_base_PKS2_SA_S4_SA_SA_S4_SA_PS5_PNS_15floating_traitsIS5_E6data_tEPKSE_.has_dyn_sized_stack, 0
	.set _ZN9rocsparseL20kernel_calculate_cooILi1024ELi64ELb1EdiiEEvT4_T3_PKS1_S4_PKT2_21rocsparse_index_base_PKS2_SA_S4_SA_SA_S4_SA_PS5_PNS_15floating_traitsIS5_E6data_tEPKSE_.has_recursion, 0
	.set _ZN9rocsparseL20kernel_calculate_cooILi1024ELi64ELb1EdiiEEvT4_T3_PKS1_S4_PKT2_21rocsparse_index_base_PKS2_SA_S4_SA_SA_S4_SA_PS5_PNS_15floating_traitsIS5_E6data_tEPKSE_.has_indirect_call, 0
	.section	.AMDGPU.csdata,"",@progbits
; Kernel info:
; codeLenInByte = 1924
; TotalNumSgprs: 56
; NumVgprs: 25
; NumAgprs: 0
; TotalNumVgprs: 25
; ScratchSize: 0
; MemoryBound: 1
; FloatMode: 240
; IeeeMode: 1
; LDSByteSize: 128 bytes/workgroup (compile time only)
; SGPRBlocks: 6
; VGPRBlocks: 3
; NumSGPRsForWavesPerEU: 56
; NumVGPRsForWavesPerEU: 25
; AccumOffset: 28
; Occupancy: 8
; WaveLimiterHint : 1
; COMPUTE_PGM_RSRC2:SCRATCH_EN: 0
; COMPUTE_PGM_RSRC2:USER_SGPR: 2
; COMPUTE_PGM_RSRC2:TRAP_HANDLER: 0
; COMPUTE_PGM_RSRC2:TGID_X_EN: 1
; COMPUTE_PGM_RSRC2:TGID_Y_EN: 0
; COMPUTE_PGM_RSRC2:TGID_Z_EN: 0
; COMPUTE_PGM_RSRC2:TIDIG_COMP_CNT: 0
; COMPUTE_PGM_RSRC3_GFX90A:ACCUM_OFFSET: 6
; COMPUTE_PGM_RSRC3_GFX90A:TG_SPLIT: 0
	.section	.text._ZN9rocsparseL16kernel_calculateILi1024ELi1ELb1EdiiEEvT4_T3_PKS2_S4_PKS1_PKT2_21rocsparse_index_base_S4_S4_S6_S4_S4_S6_S4_PS7_PNS_15floating_traitsIS7_E6data_tEPKSE_,"axG",@progbits,_ZN9rocsparseL16kernel_calculateILi1024ELi1ELb1EdiiEEvT4_T3_PKS2_S4_PKS1_PKT2_21rocsparse_index_base_S4_S4_S6_S4_S4_S6_S4_PS7_PNS_15floating_traitsIS7_E6data_tEPKSE_,comdat
	.globl	_ZN9rocsparseL16kernel_calculateILi1024ELi1ELb1EdiiEEvT4_T3_PKS2_S4_PKS1_PKT2_21rocsparse_index_base_S4_S4_S6_S4_S4_S6_S4_PS7_PNS_15floating_traitsIS7_E6data_tEPKSE_ ; -- Begin function _ZN9rocsparseL16kernel_calculateILi1024ELi1ELb1EdiiEEvT4_T3_PKS2_S4_PKS1_PKT2_21rocsparse_index_base_S4_S4_S6_S4_S4_S6_S4_PS7_PNS_15floating_traitsIS7_E6data_tEPKSE_
	.p2align	8
	.type	_ZN9rocsparseL16kernel_calculateILi1024ELi1ELb1EdiiEEvT4_T3_PKS2_S4_PKS1_PKT2_21rocsparse_index_base_S4_S4_S6_S4_S4_S6_S4_PS7_PNS_15floating_traitsIS7_E6data_tEPKSE_,@function
_ZN9rocsparseL16kernel_calculateILi1024ELi1ELb1EdiiEEvT4_T3_PKS2_S4_PKS1_PKT2_21rocsparse_index_base_S4_S4_S6_S4_S4_S6_S4_PS7_PNS_15floating_traitsIS7_E6data_tEPKSE_: ; @_ZN9rocsparseL16kernel_calculateILi1024ELi1ELb1EdiiEEvT4_T3_PKS2_S4_PKS1_PKT2_21rocsparse_index_base_S4_S4_S6_S4_S4_S6_S4_PS7_PNS_15floating_traitsIS7_E6data_tEPKSE_
; %bb.0:
	s_load_dword s3, s[0:1], 0x0
	v_lshl_or_b32 v2, s2, 10, v0
	v_mov_b64_e32 v[4:5], 0
	s_waitcnt lgkmcnt(0)
	v_cmp_gt_i32_e32 vcc, s3, v2
	s_and_saveexec_b64 s[24:25], vcc
	s_cbranch_execz .LBB20_30
; %bb.1:
	s_load_dwordx4 s[4:7], s[0:1], 0x8
	v_ashrrev_i32_e32 v3, 31, v2
	v_lshlrev_b64 v[6:7], 2, v[2:3]
	s_waitcnt lgkmcnt(0)
	v_lshl_add_u64 v[4:5], s[6:7], 0, v[6:7]
	v_lshl_add_u64 v[8:9], s[4:5], 0, v[6:7]
	global_load_dword v1, v[4:5], off
	global_load_dword v3, v[8:9], off
	v_mov_b64_e32 v[4:5], 0
	s_waitcnt vmcnt(0)
	v_cmp_lt_i32_e32 vcc, v3, v1
	s_and_saveexec_b64 s[26:27], vcc
	s_cbranch_execz .LBB20_29
; %bb.2:
	s_load_dwordx8 s[4:11], s[0:1], 0x30
	s_mov_b32 s30, 0
	s_mov_b64 s[28:29], 0
	s_movk_i32 s44, 0x1f8
	s_mov_b32 s31, 0x7ff00000
	s_waitcnt lgkmcnt(0)
	v_lshl_add_u64 v[4:5], s[4:5], 0, v[6:7]
	v_lshl_add_u64 v[6:7], s[6:7], 0, v[6:7]
	global_load_dword v8, v[6:7], off
	global_load_dword v9, v[4:5], off
	s_load_dwordx4 s[20:23], s[0:1], 0x18
	s_load_dword s33, s[0:1], 0x28
	s_load_dwordx8 s[12:19], s[0:1], 0x50
	v_mov_b64_e32 v[4:5], 0
	s_waitcnt lgkmcnt(0)
	v_subrev_u32_e32 v1, s33, v1
	v_subrev_u32_e32 v6, s33, v3
	s_waitcnt vmcnt(1)
	v_subrev_u32_e32 v3, s33, v8
	s_waitcnt vmcnt(0)
	v_subrev_u32_e32 v26, s33, v9
	v_cmp_lt_i32_e64 s[2:3], v9, v8
	s_branch .LBB20_4
.LBB20_3:                               ;   in Loop: Header=BB20_4 Depth=1
	s_or_b64 exec, exec, s[4:5]
	v_add_f64 v[10:11], v[10:11], v[18:19]
	v_cmp_eq_u32_e32 vcc, v2, v8
	v_add_u32_e32 v6, 1, v6
	s_nop 0
	v_cndmask_b32_e32 v9, v19, v11, vcc
	v_cndmask_b32_e32 v8, v18, v10, vcc
	v_cmp_nlg_f64_e64 s[4:5], |v[8:9]|, s[30:31]
	v_cmp_gt_f64_e64 s[34:35], v[4:5], |v[8:9]|
	v_and_b32_e32 v7, 0x7fffffff, v9
	s_or_b64 vcc, s[4:5], s[34:35]
	v_cmp_ge_i32_e64 s[4:5], v6, v1
	v_cndmask_b32_e32 v5, v7, v5, vcc
	s_or_b64 s[28:29], s[4:5], s[28:29]
	v_cndmask_b32_e32 v4, v8, v4, vcc
	s_andn2_b64 exec, exec, s[28:29]
	s_cbranch_execz .LBB20_28
.LBB20_4:                               ; =>This Loop Header: Depth=1
                                        ;     Child Loop BB20_7 Depth 2
                                        ;     Child Loop BB20_13 Depth 2
	;; [unrolled: 1-line block ×3, first 2 shown]
	v_ashrrev_i32_e32 v7, 31, v6
	v_lshl_add_u64 v[8:9], v[6:7], 2, s[20:21]
	global_load_dword v27, v[8:9], off
	v_lshl_add_u64 v[14:15], v[6:7], 3, s[22:23]
	s_waitcnt vmcnt(0)
	v_subrev_u32_e32 v8, s33, v27
	v_ashrrev_i32_e32 v9, 31, v8
	v_lshlrev_b64 v[10:11], 2, v[8:9]
	v_lshl_add_u64 v[12:13], s[6:7], 0, v[10:11]
	global_load_dword v9, v[12:13], off
	v_lshl_add_u64 v[12:13], s[12:13], 0, v[10:11]
	v_lshl_add_u64 v[10:11], s[10:11], 0, v[10:11]
	global_load_dword v16, v[12:13], off
	global_load_dword v17, v[10:11], off
	s_nop 0
	global_load_dwordx2 v[12:13], v[14:15], off
	v_mov_b64_e32 v[14:15], 0
	s_waitcnt vmcnt(3)
	v_subrev_u32_e32 v10, s33, v9
	v_ashrrev_i32_e32 v11, 31, v10
	v_lshl_add_u64 v[10:11], v[10:11], 3, s[18:19]
	global_load_dwordx2 v[10:11], v[10:11], off
	s_waitcnt vmcnt(2)
	v_cmp_lt_i32_e32 vcc, v17, v16
	v_subrev_u32_e32 v9, s33, v16
	v_subrev_u32_e32 v20, s33, v17
	s_and_b64 s[4:5], s[2:3], vcc
	v_mov_b32_e32 v16, v26
	s_and_saveexec_b64 s[34:35], s[4:5]
	s_cbranch_execz .LBB20_10
; %bb.5:                                ;   in Loop: Header=BB20_4 Depth=1
	v_mov_b64_e32 v[14:15], 0
	s_mov_b64 s[36:37], 0
	v_mov_b32_e32 v16, v26
	s_branch .LBB20_7
.LBB20_6:                               ;   in Loop: Header=BB20_7 Depth=2
	s_or_b64 exec, exec, s[4:5]
	v_cmp_le_i32_e32 vcc, v18, v19
	s_nop 1
	v_addc_co_u32_e32 v16, vcc, 0, v16, vcc
	v_cmp_ge_i32_e32 vcc, v18, v19
	s_nop 1
	v_addc_co_u32_e32 v20, vcc, 0, v20, vcc
	v_cmp_ge_i32_e32 vcc, v16, v3
	v_cmp_ge_i32_e64 s[4:5], v20, v9
	s_or_b64 s[4:5], vcc, s[4:5]
	s_and_b64 s[4:5], exec, s[4:5]
	s_or_b64 s[36:37], s[4:5], s[36:37]
	s_andn2_b64 exec, exec, s[36:37]
	s_cbranch_execz .LBB20_9
.LBB20_7:                               ;   Parent Loop BB20_4 Depth=1
                                        ; =>  This Inner Loop Header: Depth=2
	v_ashrrev_i32_e32 v17, 31, v16
	v_ashrrev_i32_e32 v21, 31, v20
	v_lshl_add_u64 v[18:19], v[16:17], 2, s[8:9]
	v_lshl_add_u64 v[22:23], v[20:21], 2, s[14:15]
	global_load_dword v18, v[18:19], off
	s_nop 0
	global_load_dword v19, v[22:23], off
	s_waitcnt vmcnt(0)
	v_cmp_eq_u32_e32 vcc, v18, v19
	s_and_saveexec_b64 s[4:5], vcc
	s_cbranch_execz .LBB20_6
; %bb.8:                                ;   in Loop: Header=BB20_7 Depth=2
	v_lshl_add_u64 v[22:23], v[20:21], 2, s[16:17]
	global_load_dword v22, v[22:23], off
	v_lshl_add_u64 v[24:25], v[16:17], 3, s[18:19]
	global_load_dwordx2 v[24:25], v[24:25], off
	s_waitcnt vmcnt(1)
	v_ashrrev_i32_e32 v23, 31, v22
	v_lshl_add_u64 v[22:23], v[22:23], 3, s[18:19]
	global_load_dwordx2 v[22:23], v[22:23], off
	s_waitcnt vmcnt(0)
	v_fmac_f64_e32 v[14:15], v[24:25], v[22:23]
	s_branch .LBB20_6
.LBB20_9:                               ;   in Loop: Header=BB20_4 Depth=1
	s_or_b64 exec, exec, s[36:37]
.LBB20_10:                              ;   in Loop: Header=BB20_4 Depth=1
	s_or_b64 exec, exec, s[34:35]
	s_waitcnt vmcnt(1)
	v_add_f64 v[18:19], v[14:15], -v[12:13]
	v_cmp_lt_i32_e32 vcc, v20, v9
	s_and_saveexec_b64 s[4:5], vcc
	s_cbranch_execz .LBB20_18
; %bb.11:                               ;   in Loop: Header=BB20_4 Depth=1
	v_ashrrev_i32_e32 v21, 31, v20
	v_lshl_add_u64 v[22:23], v[20:21], 2, s[14:15]
	s_mov_b64 s[34:35], 0
                                        ; implicit-def: $sgpr36_sgpr37
                                        ; implicit-def: $sgpr40_sgpr41
                                        ; implicit-def: $sgpr38_sgpr39
	s_branch .LBB20_13
.LBB20_12:                              ;   in Loop: Header=BB20_13 Depth=2
	s_or_b64 exec, exec, s[42:43]
	s_and_b64 s[42:43], exec, s[40:41]
	s_or_b64 s[34:35], s[42:43], s[34:35]
	s_andn2_b64 s[36:37], s[36:37], exec
	s_and_b64 s[42:43], s[38:39], exec
	s_or_b64 s[36:37], s[36:37], s[42:43]
	s_andn2_b64 exec, exec, s[34:35]
	s_cbranch_execz .LBB20_15
.LBB20_13:                              ;   Parent Loop BB20_4 Depth=1
                                        ; =>  This Inner Loop Header: Depth=2
	global_load_dword v17, v[22:23], off
	v_mov_b64_e32 v[24:25], v[20:21]
	s_or_b64 s[38:39], s[38:39], exec
	s_or_b64 s[40:41], s[40:41], exec
                                        ; implicit-def: $vgpr20_vgpr21
	s_waitcnt vmcnt(0)
	v_subrev_u32_e32 v17, s33, v17
	v_cmp_ne_u32_e32 vcc, v17, v2
	s_and_saveexec_b64 s[42:43], vcc
	s_cbranch_execz .LBB20_12
; %bb.14:                               ;   in Loop: Header=BB20_13 Depth=2
	v_lshl_add_u64 v[20:21], v[24:25], 0, 1
	v_cmp_ge_i32_e32 vcc, v20, v9
	s_andn2_b64 s[40:41], s[40:41], exec
	s_and_b64 s[46:47], vcc, exec
	v_lshl_add_u64 v[22:23], v[22:23], 0, 4
	s_andn2_b64 s[38:39], s[38:39], exec
	s_or_b64 s[40:41], s[40:41], s[46:47]
	s_branch .LBB20_12
.LBB20_15:                              ;   in Loop: Header=BB20_4 Depth=1
	s_or_b64 exec, exec, s[34:35]
	s_and_saveexec_b64 s[34:35], s[36:37]
	s_xor_b64 s[34:35], exec, s[34:35]
	s_cbranch_execz .LBB20_17
; %bb.16:                               ;   in Loop: Header=BB20_4 Depth=1
	v_lshl_add_u64 v[20:21], v[24:25], 2, s[16:17]
	global_load_dword v20, v[20:21], off
	s_waitcnt vmcnt(0)
	v_ashrrev_i32_e32 v21, 31, v20
	v_lshl_add_u64 v[20:21], v[20:21], 3, s[18:19]
	global_load_dwordx2 v[20:21], v[20:21], off
	s_waitcnt vmcnt(0)
	v_add_f64 v[18:19], v[18:19], v[20:21]
.LBB20_17:                              ;   in Loop: Header=BB20_4 Depth=1
	s_or_b64 exec, exec, s[34:35]
.LBB20_18:                              ;   in Loop: Header=BB20_4 Depth=1
	s_or_b64 exec, exec, s[4:5]
	v_cmp_lt_i32_e32 vcc, v16, v3
	s_and_saveexec_b64 s[4:5], vcc
	s_cbranch_execz .LBB20_26
; %bb.19:                               ;   in Loop: Header=BB20_4 Depth=1
	v_ashrrev_i32_e32 v17, 31, v16
	v_lshl_add_u64 v[20:21], v[16:17], 2, s[8:9]
	s_mov_b64 s[34:35], 0
                                        ; implicit-def: $sgpr36_sgpr37
                                        ; implicit-def: $sgpr40_sgpr41
                                        ; implicit-def: $sgpr38_sgpr39
	s_branch .LBB20_21
.LBB20_20:                              ;   in Loop: Header=BB20_21 Depth=2
	s_or_b64 exec, exec, s[42:43]
	s_and_b64 s[42:43], exec, s[40:41]
	s_or_b64 s[34:35], s[42:43], s[34:35]
	s_andn2_b64 s[36:37], s[36:37], exec
	s_and_b64 s[42:43], s[38:39], exec
	s_or_b64 s[36:37], s[36:37], s[42:43]
	s_andn2_b64 exec, exec, s[34:35]
	s_cbranch_execz .LBB20_23
.LBB20_21:                              ;   Parent Loop BB20_4 Depth=1
                                        ; =>  This Inner Loop Header: Depth=2
	global_load_dword v9, v[20:21], off
	v_mov_b64_e32 v[22:23], v[16:17]
	s_or_b64 s[38:39], s[38:39], exec
	s_or_b64 s[40:41], s[40:41], exec
                                        ; implicit-def: $vgpr16_vgpr17
	s_waitcnt vmcnt(0)
	v_cmp_ne_u32_e32 vcc, v9, v27
	s_and_saveexec_b64 s[42:43], vcc
	s_cbranch_execz .LBB20_20
; %bb.22:                               ;   in Loop: Header=BB20_21 Depth=2
	v_lshl_add_u64 v[16:17], v[22:23], 0, 1
	v_cmp_ge_i32_e32 vcc, v16, v3
	s_andn2_b64 s[40:41], s[40:41], exec
	s_and_b64 s[46:47], vcc, exec
	v_lshl_add_u64 v[20:21], v[20:21], 0, 4
	s_andn2_b64 s[38:39], s[38:39], exec
	s_or_b64 s[40:41], s[40:41], s[46:47]
	s_branch .LBB20_20
.LBB20_23:                              ;   in Loop: Header=BB20_4 Depth=1
	s_or_b64 exec, exec, s[34:35]
	s_and_saveexec_b64 s[34:35], s[36:37]
	s_xor_b64 s[34:35], exec, s[34:35]
	s_cbranch_execz .LBB20_25
; %bb.24:                               ;   in Loop: Header=BB20_4 Depth=1
	v_lshl_add_u64 v[16:17], v[22:23], 3, s[18:19]
	global_load_dwordx2 v[16:17], v[16:17], off
	s_waitcnt vmcnt(0)
	v_fmac_f64_e32 v[18:19], v[16:17], v[10:11]
.LBB20_25:                              ;   in Loop: Header=BB20_4 Depth=1
	s_or_b64 exec, exec, s[34:35]
.LBB20_26:                              ;   in Loop: Header=BB20_4 Depth=1
	s_or_b64 exec, exec, s[4:5]
	v_add_f64 v[12:13], v[12:13], -v[14:15]
	s_waitcnt vmcnt(0)
	v_div_scale_f64 v[14:15], s[4:5], v[10:11], v[10:11], v[12:13]
	v_rcp_f64_e32 v[16:17], v[14:15]
	v_div_scale_f64 v[20:21], vcc, v[12:13], v[10:11], v[12:13]
	v_fma_f64 v[22:23], -v[14:15], v[16:17], 1.0
	v_fmac_f64_e32 v[16:17], v[16:17], v[22:23]
	v_fma_f64 v[22:23], -v[14:15], v[16:17], 1.0
	v_fmac_f64_e32 v[16:17], v[16:17], v[22:23]
	v_mul_f64 v[22:23], v[20:21], v[16:17]
	v_fma_f64 v[14:15], -v[14:15], v[22:23], v[20:21]
	v_div_fmas_f64 v[14:15], v[14:15], v[16:17], v[22:23]
	v_div_fixup_f64 v[14:15], v[14:15], v[10:11], v[12:13]
	v_cmp_gt_i32_e32 vcc, v2, v8
	s_nop 1
	v_cndmask_b32_e32 v13, v13, v15, vcc
	v_cndmask_b32_e32 v12, v12, v14, vcc
	v_cmp_class_f64_e64 s[34:35], v[12:13], s44
	s_and_saveexec_b64 s[4:5], s[34:35]
	s_cbranch_execz .LBB20_3
; %bb.27:                               ;   in Loop: Header=BB20_4 Depth=1
	v_lshl_add_u64 v[14:15], v[6:7], 3, s[18:19]
	global_store_dwordx2 v[14:15], v[12:13], off
	s_branch .LBB20_3
.LBB20_28:
	s_or_b64 exec, exec, s[28:29]
.LBB20_29:
	s_or_b64 exec, exec, s[26:27]
.LBB20_30:
	s_or_b64 exec, exec, s[24:25]
	s_movk_i32 s2, 0x200
	v_lshlrev_b32_e32 v1, 3, v0
	v_cmp_gt_u32_e32 vcc, s2, v0
	ds_write_b64 v1, v[4:5]
	s_waitcnt lgkmcnt(0)
	s_barrier
	s_and_saveexec_b64 s[2:3], vcc
	s_cbranch_execz .LBB20_32
; %bb.31:
	ds_read2st64_b64 v[2:5], v1 offset1:8
	s_waitcnt lgkmcnt(0)
	v_cmp_lt_f64_e32 vcc, v[2:3], v[4:5]
	s_nop 1
	v_cndmask_b32_e32 v3, v3, v5, vcc
	v_cndmask_b32_e32 v2, v2, v4, vcc
	ds_write_b64 v1, v[2:3]
.LBB20_32:
	s_or_b64 exec, exec, s[2:3]
	s_movk_i32 s2, 0x100
	v_cmp_gt_u32_e32 vcc, s2, v0
	s_waitcnt lgkmcnt(0)
	s_barrier
	s_and_saveexec_b64 s[2:3], vcc
	s_cbranch_execz .LBB20_34
; %bb.33:
	ds_read2st64_b64 v[2:5], v1 offset1:4
	s_waitcnt lgkmcnt(0)
	v_cmp_lt_f64_e32 vcc, v[2:3], v[4:5]
	s_nop 1
	v_cndmask_b32_e32 v3, v3, v5, vcc
	v_cndmask_b32_e32 v2, v2, v4, vcc
	ds_write_b64 v1, v[2:3]
.LBB20_34:
	s_or_b64 exec, exec, s[2:3]
	s_movk_i32 s2, 0x80
	v_cmp_gt_u32_e32 vcc, s2, v0
	s_waitcnt lgkmcnt(0)
	s_barrier
	s_and_saveexec_b64 s[2:3], vcc
	s_cbranch_execz .LBB20_36
; %bb.35:
	ds_read2st64_b64 v[2:5], v1 offset1:2
	s_waitcnt lgkmcnt(0)
	v_cmp_lt_f64_e32 vcc, v[2:3], v[4:5]
	s_nop 1
	v_cndmask_b32_e32 v3, v3, v5, vcc
	v_cndmask_b32_e32 v2, v2, v4, vcc
	ds_write_b64 v1, v[2:3]
.LBB20_36:
	s_or_b64 exec, exec, s[2:3]
	v_cmp_gt_u32_e32 vcc, 64, v0
	s_waitcnt lgkmcnt(0)
	s_barrier
	s_and_saveexec_b64 s[2:3], vcc
	s_cbranch_execz .LBB20_38
; %bb.37:
	ds_read2st64_b64 v[2:5], v1 offset1:1
	s_waitcnt lgkmcnt(0)
	v_cmp_lt_f64_e32 vcc, v[2:3], v[4:5]
	s_nop 1
	v_cndmask_b32_e32 v3, v3, v5, vcc
	v_cndmask_b32_e32 v2, v2, v4, vcc
	ds_write_b64 v1, v[2:3]
.LBB20_38:
	s_or_b64 exec, exec, s[2:3]
	v_cmp_gt_u32_e32 vcc, 32, v0
	s_waitcnt lgkmcnt(0)
	s_barrier
	s_and_saveexec_b64 s[2:3], vcc
	s_cbranch_execz .LBB20_40
; %bb.39:
	ds_read2_b64 v[2:5], v1 offset1:32
	s_waitcnt lgkmcnt(0)
	v_cmp_lt_f64_e32 vcc, v[2:3], v[4:5]
	s_nop 1
	v_cndmask_b32_e32 v3, v3, v5, vcc
	v_cndmask_b32_e32 v2, v2, v4, vcc
	ds_write_b64 v1, v[2:3]
.LBB20_40:
	s_or_b64 exec, exec, s[2:3]
	v_cmp_gt_u32_e32 vcc, 16, v0
	s_waitcnt lgkmcnt(0)
	s_barrier
	s_and_saveexec_b64 s[2:3], vcc
	s_cbranch_execz .LBB20_42
; %bb.41:
	ds_read2_b64 v[2:5], v1 offset1:16
	s_waitcnt lgkmcnt(0)
	v_cmp_lt_f64_e32 vcc, v[2:3], v[4:5]
	s_nop 1
	v_cndmask_b32_e32 v3, v3, v5, vcc
	v_cndmask_b32_e32 v2, v2, v4, vcc
	ds_write_b64 v1, v[2:3]
.LBB20_42:
	;; [unrolled: 15-line block ×5, first 2 shown]
	s_or_b64 exec, exec, s[2:3]
	v_cmp_eq_u32_e32 vcc, 0, v0
	s_waitcnt lgkmcnt(0)
	s_barrier
	s_and_saveexec_b64 s[4:5], vcc
	s_cbranch_execz .LBB20_50
; %bb.49:
	v_mov_b32_e32 v4, 0
	ds_read_b128 v[0:3], v4
	s_waitcnt lgkmcnt(0)
	v_cmp_lt_f64_e64 s[2:3], v[0:1], v[2:3]
	s_nop 1
	v_cndmask_b32_e64 v1, v1, v3, s[2:3]
	v_cndmask_b32_e64 v0, v0, v2, s[2:3]
	ds_write_b64 v4, v[0:1]
.LBB20_50:
	s_or_b64 exec, exec, s[4:5]
	s_waitcnt lgkmcnt(0)
	s_barrier
	s_and_saveexec_b64 s[2:3], vcc
	s_cbranch_execz .LBB20_53
; %bb.51:
	v_mbcnt_lo_u32_b32 v0, exec_lo, 0
	v_mbcnt_hi_u32_b32 v0, exec_hi, v0
	v_cmp_eq_u32_e32 vcc, 0, v0
	s_and_b64 exec, exec, vcc
	s_cbranch_execz .LBB20_53
; %bb.52:
	s_load_dwordx4 s[0:3], s[0:1], 0x70
	v_mov_b32_e32 v10, 0
	ds_read_b64 v[0:1], v10
	s_waitcnt lgkmcnt(0)
	s_load_dwordx2 s[2:3], s[2:3], 0x0
	s_waitcnt lgkmcnt(0)
	v_div_scale_f64 v[2:3], s[4:5], s[2:3], s[2:3], v[0:1]
	v_rcp_f64_e32 v[4:5], v[2:3]
	v_div_scale_f64 v[6:7], vcc, v[0:1], s[2:3], v[0:1]
	v_fma_f64 v[8:9], -v[2:3], v[4:5], 1.0
	v_fmac_f64_e32 v[4:5], v[4:5], v[8:9]
	v_fma_f64 v[8:9], -v[2:3], v[4:5], 1.0
	v_fmac_f64_e32 v[4:5], v[4:5], v[8:9]
	v_mul_f64 v[8:9], v[6:7], v[4:5]
	v_fma_f64 v[2:3], -v[2:3], v[8:9], v[6:7]
	v_div_fmas_f64 v[2:3], v[2:3], v[4:5], v[8:9]
	v_div_fixup_f64 v[0:1], v[2:3], s[2:3], v[0:1]
	global_atomic_max_f64 v10, v[0:1], s[0:1]
.LBB20_53:
	s_endpgm
	.section	.rodata,"a",@progbits
	.p2align	6, 0x0
	.amdhsa_kernel _ZN9rocsparseL16kernel_calculateILi1024ELi1ELb1EdiiEEvT4_T3_PKS2_S4_PKS1_PKT2_21rocsparse_index_base_S4_S4_S6_S4_S4_S6_S4_PS7_PNS_15floating_traitsIS7_E6data_tEPKSE_
		.amdhsa_group_segment_fixed_size 8192
		.amdhsa_private_segment_fixed_size 0
		.amdhsa_kernarg_size 128
		.amdhsa_user_sgpr_count 2
		.amdhsa_user_sgpr_dispatch_ptr 0
		.amdhsa_user_sgpr_queue_ptr 0
		.amdhsa_user_sgpr_kernarg_segment_ptr 1
		.amdhsa_user_sgpr_dispatch_id 0
		.amdhsa_user_sgpr_kernarg_preload_length 0
		.amdhsa_user_sgpr_kernarg_preload_offset 0
		.amdhsa_user_sgpr_private_segment_size 0
		.amdhsa_uses_dynamic_stack 0
		.amdhsa_enable_private_segment 0
		.amdhsa_system_sgpr_workgroup_id_x 1
		.amdhsa_system_sgpr_workgroup_id_y 0
		.amdhsa_system_sgpr_workgroup_id_z 0
		.amdhsa_system_sgpr_workgroup_info 0
		.amdhsa_system_vgpr_workitem_id 0
		.amdhsa_next_free_vgpr 28
		.amdhsa_next_free_sgpr 48
		.amdhsa_accum_offset 28
		.amdhsa_reserve_vcc 1
		.amdhsa_float_round_mode_32 0
		.amdhsa_float_round_mode_16_64 0
		.amdhsa_float_denorm_mode_32 3
		.amdhsa_float_denorm_mode_16_64 3
		.amdhsa_dx10_clamp 1
		.amdhsa_ieee_mode 1
		.amdhsa_fp16_overflow 0
		.amdhsa_tg_split 0
		.amdhsa_exception_fp_ieee_invalid_op 0
		.amdhsa_exception_fp_denorm_src 0
		.amdhsa_exception_fp_ieee_div_zero 0
		.amdhsa_exception_fp_ieee_overflow 0
		.amdhsa_exception_fp_ieee_underflow 0
		.amdhsa_exception_fp_ieee_inexact 0
		.amdhsa_exception_int_div_zero 0
	.end_amdhsa_kernel
	.section	.text._ZN9rocsparseL16kernel_calculateILi1024ELi1ELb1EdiiEEvT4_T3_PKS2_S4_PKS1_PKT2_21rocsparse_index_base_S4_S4_S6_S4_S4_S6_S4_PS7_PNS_15floating_traitsIS7_E6data_tEPKSE_,"axG",@progbits,_ZN9rocsparseL16kernel_calculateILi1024ELi1ELb1EdiiEEvT4_T3_PKS2_S4_PKS1_PKT2_21rocsparse_index_base_S4_S4_S6_S4_S4_S6_S4_PS7_PNS_15floating_traitsIS7_E6data_tEPKSE_,comdat
.Lfunc_end20:
	.size	_ZN9rocsparseL16kernel_calculateILi1024ELi1ELb1EdiiEEvT4_T3_PKS2_S4_PKS1_PKT2_21rocsparse_index_base_S4_S4_S6_S4_S4_S6_S4_PS7_PNS_15floating_traitsIS7_E6data_tEPKSE_, .Lfunc_end20-_ZN9rocsparseL16kernel_calculateILi1024ELi1ELb1EdiiEEvT4_T3_PKS2_S4_PKS1_PKT2_21rocsparse_index_base_S4_S4_S6_S4_S4_S6_S4_PS7_PNS_15floating_traitsIS7_E6data_tEPKSE_
                                        ; -- End function
	.set _ZN9rocsparseL16kernel_calculateILi1024ELi1ELb1EdiiEEvT4_T3_PKS2_S4_PKS1_PKT2_21rocsparse_index_base_S4_S4_S6_S4_S4_S6_S4_PS7_PNS_15floating_traitsIS7_E6data_tEPKSE_.num_vgpr, 28
	.set _ZN9rocsparseL16kernel_calculateILi1024ELi1ELb1EdiiEEvT4_T3_PKS2_S4_PKS1_PKT2_21rocsparse_index_base_S4_S4_S6_S4_S4_S6_S4_PS7_PNS_15floating_traitsIS7_E6data_tEPKSE_.num_agpr, 0
	.set _ZN9rocsparseL16kernel_calculateILi1024ELi1ELb1EdiiEEvT4_T3_PKS2_S4_PKS1_PKT2_21rocsparse_index_base_S4_S4_S6_S4_S4_S6_S4_PS7_PNS_15floating_traitsIS7_E6data_tEPKSE_.numbered_sgpr, 48
	.set _ZN9rocsparseL16kernel_calculateILi1024ELi1ELb1EdiiEEvT4_T3_PKS2_S4_PKS1_PKT2_21rocsparse_index_base_S4_S4_S6_S4_S4_S6_S4_PS7_PNS_15floating_traitsIS7_E6data_tEPKSE_.num_named_barrier, 0
	.set _ZN9rocsparseL16kernel_calculateILi1024ELi1ELb1EdiiEEvT4_T3_PKS2_S4_PKS1_PKT2_21rocsparse_index_base_S4_S4_S6_S4_S4_S6_S4_PS7_PNS_15floating_traitsIS7_E6data_tEPKSE_.private_seg_size, 0
	.set _ZN9rocsparseL16kernel_calculateILi1024ELi1ELb1EdiiEEvT4_T3_PKS2_S4_PKS1_PKT2_21rocsparse_index_base_S4_S4_S6_S4_S4_S6_S4_PS7_PNS_15floating_traitsIS7_E6data_tEPKSE_.uses_vcc, 1
	.set _ZN9rocsparseL16kernel_calculateILi1024ELi1ELb1EdiiEEvT4_T3_PKS2_S4_PKS1_PKT2_21rocsparse_index_base_S4_S4_S6_S4_S4_S6_S4_PS7_PNS_15floating_traitsIS7_E6data_tEPKSE_.uses_flat_scratch, 0
	.set _ZN9rocsparseL16kernel_calculateILi1024ELi1ELb1EdiiEEvT4_T3_PKS2_S4_PKS1_PKT2_21rocsparse_index_base_S4_S4_S6_S4_S4_S6_S4_PS7_PNS_15floating_traitsIS7_E6data_tEPKSE_.has_dyn_sized_stack, 0
	.set _ZN9rocsparseL16kernel_calculateILi1024ELi1ELb1EdiiEEvT4_T3_PKS2_S4_PKS1_PKT2_21rocsparse_index_base_S4_S4_S6_S4_S4_S6_S4_PS7_PNS_15floating_traitsIS7_E6data_tEPKSE_.has_recursion, 0
	.set _ZN9rocsparseL16kernel_calculateILi1024ELi1ELb1EdiiEEvT4_T3_PKS2_S4_PKS1_PKT2_21rocsparse_index_base_S4_S4_S6_S4_S4_S6_S4_PS7_PNS_15floating_traitsIS7_E6data_tEPKSE_.has_indirect_call, 0
	.section	.AMDGPU.csdata,"",@progbits
; Kernel info:
; codeLenInByte = 2096
; TotalNumSgprs: 54
; NumVgprs: 28
; NumAgprs: 0
; TotalNumVgprs: 28
; ScratchSize: 0
; MemoryBound: 1
; FloatMode: 240
; IeeeMode: 1
; LDSByteSize: 8192 bytes/workgroup (compile time only)
; SGPRBlocks: 6
; VGPRBlocks: 3
; NumSGPRsForWavesPerEU: 54
; NumVGPRsForWavesPerEU: 28
; AccumOffset: 28
; Occupancy: 8
; WaveLimiterHint : 1
; COMPUTE_PGM_RSRC2:SCRATCH_EN: 0
; COMPUTE_PGM_RSRC2:USER_SGPR: 2
; COMPUTE_PGM_RSRC2:TRAP_HANDLER: 0
; COMPUTE_PGM_RSRC2:TGID_X_EN: 1
; COMPUTE_PGM_RSRC2:TGID_Y_EN: 0
; COMPUTE_PGM_RSRC2:TGID_Z_EN: 0
; COMPUTE_PGM_RSRC2:TIDIG_COMP_CNT: 0
; COMPUTE_PGM_RSRC3_GFX90A:ACCUM_OFFSET: 6
; COMPUTE_PGM_RSRC3_GFX90A:TG_SPLIT: 0
	.section	.text._ZN9rocsparseL16kernel_calculateILi1024ELi2ELb1EdiiEEvT4_T3_PKS2_S4_PKS1_PKT2_21rocsparse_index_base_S4_S4_S6_S4_S4_S6_S4_PS7_PNS_15floating_traitsIS7_E6data_tEPKSE_,"axG",@progbits,_ZN9rocsparseL16kernel_calculateILi1024ELi2ELb1EdiiEEvT4_T3_PKS2_S4_PKS1_PKT2_21rocsparse_index_base_S4_S4_S6_S4_S4_S6_S4_PS7_PNS_15floating_traitsIS7_E6data_tEPKSE_,comdat
	.globl	_ZN9rocsparseL16kernel_calculateILi1024ELi2ELb1EdiiEEvT4_T3_PKS2_S4_PKS1_PKT2_21rocsparse_index_base_S4_S4_S6_S4_S4_S6_S4_PS7_PNS_15floating_traitsIS7_E6data_tEPKSE_ ; -- Begin function _ZN9rocsparseL16kernel_calculateILi1024ELi2ELb1EdiiEEvT4_T3_PKS2_S4_PKS1_PKT2_21rocsparse_index_base_S4_S4_S6_S4_S4_S6_S4_PS7_PNS_15floating_traitsIS7_E6data_tEPKSE_
	.p2align	8
	.type	_ZN9rocsparseL16kernel_calculateILi1024ELi2ELb1EdiiEEvT4_T3_PKS2_S4_PKS1_PKT2_21rocsparse_index_base_S4_S4_S6_S4_S4_S6_S4_PS7_PNS_15floating_traitsIS7_E6data_tEPKSE_,@function
_ZN9rocsparseL16kernel_calculateILi1024ELi2ELb1EdiiEEvT4_T3_PKS2_S4_PKS1_PKT2_21rocsparse_index_base_S4_S4_S6_S4_S4_S6_S4_PS7_PNS_15floating_traitsIS7_E6data_tEPKSE_: ; @_ZN9rocsparseL16kernel_calculateILi1024ELi2ELb1EdiiEEvT4_T3_PKS2_S4_PKS1_PKT2_21rocsparse_index_base_S4_S4_S6_S4_S4_S6_S4_PS7_PNS_15floating_traitsIS7_E6data_tEPKSE_
; %bb.0:
	s_load_dword s46, s[0:1], 0x0
	v_lshrrev_b32_e32 v1, 1, v0
	v_lshl_or_b32 v6, s2, 10, v1
	v_and_b32_e32 v32, 1, v0
	v_mov_b64_e32 v[2:3], 0
	s_waitcnt lgkmcnt(0)
	v_cmp_gt_i32_e32 vcc, s46, v6
	s_and_saveexec_b64 s[28:29], vcc
	s_cbranch_execz .LBB21_60
; %bb.1:
	s_load_dwordx8 s[4:11], s[0:1], 0x8
	v_ashrrev_i32_e32 v7, 31, v6
	v_lshlrev_b64 v[4:5], 2, v[6:7]
	s_waitcnt lgkmcnt(0)
	v_lshl_add_u64 v[8:9], s[6:7], 0, v[4:5]
	v_lshl_add_u64 v[10:11], s[4:5], 0, v[4:5]
	global_load_dword v2, v[8:9], off
	global_load_dword v3, v[10:11], off
	s_load_dword s33, s[0:1], 0x28
	s_load_dwordx8 s[12:19], s[0:1], 0x50
	s_load_dwordx8 s[20:27], s[0:1], 0x30
	s_waitcnt lgkmcnt(0)
	v_subrev_u32_e32 v7, s33, v32
	s_waitcnt vmcnt(1)
	v_subrev_u32_e32 v33, s33, v2
	s_waitcnt vmcnt(0)
	v_add_u32_e32 v12, v7, v3
	v_cmp_lt_i32_e32 vcc, v12, v33
	v_mov_b64_e32 v[2:3], 0
	s_and_saveexec_b64 s[6:7], vcc
	s_cbranch_execz .LBB21_29
; %bb.2:
	v_lshl_add_u64 v[2:3], s[22:23], 0, v[4:5]
	global_load_dword v13, v[2:3], off
	v_lshl_add_u64 v[2:3], s[20:21], 0, v[4:5]
	global_load_dword v14, v[2:3], off
	s_mov_b32 s34, 0
	v_mov_b64_e32 v[2:3], 0
	s_mov_b64 s[30:31], 0
	s_movk_i32 s47, 0x1f8
	s_mov_b32 s35, 0x7ff00000
	s_waitcnt vmcnt(1)
	v_subrev_u32_e32 v34, s33, v13
	s_waitcnt vmcnt(0)
	v_subrev_u32_e32 v35, s33, v14
	v_cmp_lt_i32_e64 s[2:3], v14, v13
	s_branch .LBB21_4
.LBB21_3:                               ;   in Loop: Header=BB21_4 Depth=1
	s_or_b64 exec, exec, s[4:5]
	v_add_f64 v[16:17], v[16:17], v[24:25]
	v_cmp_eq_u32_e32 vcc, v6, v14
	v_add_u32_e32 v12, 2, v12
	s_nop 0
	v_cndmask_b32_e32 v15, v25, v17, vcc
	v_cndmask_b32_e32 v14, v24, v16, vcc
	v_cmp_nlg_f64_e64 s[4:5], |v[14:15]|, s[34:35]
	v_cmp_gt_f64_e64 s[36:37], v[2:3], |v[14:15]|
	v_and_b32_e32 v13, 0x7fffffff, v15
	s_or_b64 vcc, s[4:5], s[36:37]
	v_cmp_ge_i32_e64 s[4:5], v12, v33
	v_cndmask_b32_e32 v3, v13, v3, vcc
	s_or_b64 s[30:31], s[4:5], s[30:31]
	v_cndmask_b32_e32 v2, v14, v2, vcc
	s_andn2_b64 exec, exec, s[30:31]
	s_cbranch_execz .LBB21_28
.LBB21_4:                               ; =>This Loop Header: Depth=1
                                        ;     Child Loop BB21_7 Depth 2
                                        ;     Child Loop BB21_13 Depth 2
	;; [unrolled: 1-line block ×3, first 2 shown]
	v_ashrrev_i32_e32 v13, 31, v12
	v_lshl_add_u64 v[14:15], v[12:13], 2, s[8:9]
	global_load_dword v36, v[14:15], off
	v_lshl_add_u64 v[20:21], v[12:13], 3, s[10:11]
	s_waitcnt vmcnt(0)
	v_subrev_u32_e32 v14, s33, v36
	v_ashrrev_i32_e32 v15, 31, v14
	v_lshlrev_b64 v[16:17], 2, v[14:15]
	v_lshl_add_u64 v[18:19], s[22:23], 0, v[16:17]
	global_load_dword v15, v[18:19], off
	v_lshl_add_u64 v[18:19], s[12:13], 0, v[16:17]
	v_lshl_add_u64 v[16:17], s[26:27], 0, v[16:17]
	global_load_dword v22, v[18:19], off
	global_load_dword v23, v[16:17], off
	s_nop 0
	global_load_dwordx2 v[18:19], v[20:21], off
	v_mov_b64_e32 v[20:21], 0
	s_waitcnt vmcnt(3)
	v_subrev_u32_e32 v16, s33, v15
	v_ashrrev_i32_e32 v17, 31, v16
	v_lshl_add_u64 v[16:17], v[16:17], 3, s[18:19]
	global_load_dwordx2 v[16:17], v[16:17], off
	s_waitcnt vmcnt(2)
	v_cmp_lt_i32_e32 vcc, v23, v22
	v_subrev_u32_e32 v15, s33, v22
	v_subrev_u32_e32 v26, s33, v23
	s_and_b64 s[4:5], s[2:3], vcc
	v_mov_b32_e32 v22, v35
	s_and_saveexec_b64 s[36:37], s[4:5]
	s_cbranch_execz .LBB21_10
; %bb.5:                                ;   in Loop: Header=BB21_4 Depth=1
	v_mov_b64_e32 v[20:21], 0
	s_mov_b64 s[38:39], 0
	v_mov_b32_e32 v22, v35
	s_branch .LBB21_7
.LBB21_6:                               ;   in Loop: Header=BB21_7 Depth=2
	s_or_b64 exec, exec, s[4:5]
	v_cmp_le_i32_e32 vcc, v24, v25
	s_nop 1
	v_addc_co_u32_e32 v22, vcc, 0, v22, vcc
	v_cmp_ge_i32_e32 vcc, v24, v25
	s_nop 1
	v_addc_co_u32_e32 v26, vcc, 0, v26, vcc
	v_cmp_ge_i32_e32 vcc, v22, v34
	v_cmp_ge_i32_e64 s[4:5], v26, v15
	s_or_b64 s[4:5], vcc, s[4:5]
	s_and_b64 s[4:5], exec, s[4:5]
	s_or_b64 s[38:39], s[4:5], s[38:39]
	s_andn2_b64 exec, exec, s[38:39]
	s_cbranch_execz .LBB21_9
.LBB21_7:                               ;   Parent Loop BB21_4 Depth=1
                                        ; =>  This Inner Loop Header: Depth=2
	v_ashrrev_i32_e32 v23, 31, v22
	v_ashrrev_i32_e32 v27, 31, v26
	v_lshl_add_u64 v[24:25], v[22:23], 2, s[24:25]
	v_lshl_add_u64 v[28:29], v[26:27], 2, s[14:15]
	global_load_dword v24, v[24:25], off
	s_nop 0
	global_load_dword v25, v[28:29], off
	s_waitcnt vmcnt(0)
	v_cmp_eq_u32_e32 vcc, v24, v25
	s_and_saveexec_b64 s[4:5], vcc
	s_cbranch_execz .LBB21_6
; %bb.8:                                ;   in Loop: Header=BB21_7 Depth=2
	v_lshl_add_u64 v[28:29], v[26:27], 2, s[16:17]
	global_load_dword v28, v[28:29], off
	v_lshl_add_u64 v[30:31], v[22:23], 3, s[18:19]
	global_load_dwordx2 v[30:31], v[30:31], off
	s_waitcnt vmcnt(1)
	v_ashrrev_i32_e32 v29, 31, v28
	v_lshl_add_u64 v[28:29], v[28:29], 3, s[18:19]
	global_load_dwordx2 v[28:29], v[28:29], off
	s_waitcnt vmcnt(0)
	v_fmac_f64_e32 v[20:21], v[30:31], v[28:29]
	s_branch .LBB21_6
.LBB21_9:                               ;   in Loop: Header=BB21_4 Depth=1
	s_or_b64 exec, exec, s[38:39]
.LBB21_10:                              ;   in Loop: Header=BB21_4 Depth=1
	s_or_b64 exec, exec, s[36:37]
	s_waitcnt vmcnt(1)
	v_add_f64 v[24:25], v[20:21], -v[18:19]
	v_cmp_lt_i32_e32 vcc, v26, v15
	s_and_saveexec_b64 s[4:5], vcc
	s_cbranch_execz .LBB21_18
; %bb.11:                               ;   in Loop: Header=BB21_4 Depth=1
	v_ashrrev_i32_e32 v27, 31, v26
	v_lshl_add_u64 v[28:29], v[26:27], 2, s[14:15]
	s_mov_b64 s[36:37], 0
                                        ; implicit-def: $sgpr38_sgpr39
                                        ; implicit-def: $sgpr42_sgpr43
                                        ; implicit-def: $sgpr40_sgpr41
	s_branch .LBB21_13
.LBB21_12:                              ;   in Loop: Header=BB21_13 Depth=2
	s_or_b64 exec, exec, s[44:45]
	s_and_b64 s[44:45], exec, s[42:43]
	s_or_b64 s[36:37], s[44:45], s[36:37]
	s_andn2_b64 s[38:39], s[38:39], exec
	s_and_b64 s[44:45], s[40:41], exec
	s_or_b64 s[38:39], s[38:39], s[44:45]
	s_andn2_b64 exec, exec, s[36:37]
	s_cbranch_execz .LBB21_15
.LBB21_13:                              ;   Parent Loop BB21_4 Depth=1
                                        ; =>  This Inner Loop Header: Depth=2
	global_load_dword v23, v[28:29], off
	v_mov_b64_e32 v[30:31], v[26:27]
	s_or_b64 s[40:41], s[40:41], exec
	s_or_b64 s[42:43], s[42:43], exec
                                        ; implicit-def: $vgpr26_vgpr27
	s_waitcnt vmcnt(0)
	v_subrev_u32_e32 v23, s33, v23
	v_cmp_ne_u32_e32 vcc, v23, v6
	s_and_saveexec_b64 s[44:45], vcc
	s_cbranch_execz .LBB21_12
; %bb.14:                               ;   in Loop: Header=BB21_13 Depth=2
	v_lshl_add_u64 v[26:27], v[30:31], 0, 1
	v_cmp_ge_i32_e32 vcc, v26, v15
	s_andn2_b64 s[42:43], s[42:43], exec
	s_and_b64 s[48:49], vcc, exec
	v_lshl_add_u64 v[28:29], v[28:29], 0, 4
	s_andn2_b64 s[40:41], s[40:41], exec
	s_or_b64 s[42:43], s[42:43], s[48:49]
	s_branch .LBB21_12
.LBB21_15:                              ;   in Loop: Header=BB21_4 Depth=1
	s_or_b64 exec, exec, s[36:37]
	s_and_saveexec_b64 s[36:37], s[38:39]
	s_xor_b64 s[36:37], exec, s[36:37]
	s_cbranch_execz .LBB21_17
; %bb.16:                               ;   in Loop: Header=BB21_4 Depth=1
	v_lshl_add_u64 v[26:27], v[30:31], 2, s[16:17]
	global_load_dword v26, v[26:27], off
	s_waitcnt vmcnt(0)
	v_ashrrev_i32_e32 v27, 31, v26
	v_lshl_add_u64 v[26:27], v[26:27], 3, s[18:19]
	global_load_dwordx2 v[26:27], v[26:27], off
	s_waitcnt vmcnt(0)
	v_add_f64 v[24:25], v[24:25], v[26:27]
.LBB21_17:                              ;   in Loop: Header=BB21_4 Depth=1
	s_or_b64 exec, exec, s[36:37]
.LBB21_18:                              ;   in Loop: Header=BB21_4 Depth=1
	s_or_b64 exec, exec, s[4:5]
	v_cmp_lt_i32_e32 vcc, v22, v34
	s_and_saveexec_b64 s[4:5], vcc
	s_cbranch_execz .LBB21_26
; %bb.19:                               ;   in Loop: Header=BB21_4 Depth=1
	v_ashrrev_i32_e32 v23, 31, v22
	v_lshl_add_u64 v[26:27], v[22:23], 2, s[24:25]
	s_mov_b64 s[36:37], 0
                                        ; implicit-def: $sgpr38_sgpr39
                                        ; implicit-def: $sgpr42_sgpr43
                                        ; implicit-def: $sgpr40_sgpr41
	s_branch .LBB21_21
.LBB21_20:                              ;   in Loop: Header=BB21_21 Depth=2
	s_or_b64 exec, exec, s[44:45]
	s_and_b64 s[44:45], exec, s[42:43]
	s_or_b64 s[36:37], s[44:45], s[36:37]
	s_andn2_b64 s[38:39], s[38:39], exec
	s_and_b64 s[44:45], s[40:41], exec
	s_or_b64 s[38:39], s[38:39], s[44:45]
	s_andn2_b64 exec, exec, s[36:37]
	s_cbranch_execz .LBB21_23
.LBB21_21:                              ;   Parent Loop BB21_4 Depth=1
                                        ; =>  This Inner Loop Header: Depth=2
	global_load_dword v15, v[26:27], off
	v_mov_b64_e32 v[28:29], v[22:23]
	s_or_b64 s[40:41], s[40:41], exec
	s_or_b64 s[42:43], s[42:43], exec
                                        ; implicit-def: $vgpr22_vgpr23
	s_waitcnt vmcnt(0)
	v_cmp_ne_u32_e32 vcc, v15, v36
	s_and_saveexec_b64 s[44:45], vcc
	s_cbranch_execz .LBB21_20
; %bb.22:                               ;   in Loop: Header=BB21_21 Depth=2
	v_lshl_add_u64 v[22:23], v[28:29], 0, 1
	v_cmp_ge_i32_e32 vcc, v22, v34
	s_andn2_b64 s[42:43], s[42:43], exec
	s_and_b64 s[48:49], vcc, exec
	v_lshl_add_u64 v[26:27], v[26:27], 0, 4
	s_andn2_b64 s[40:41], s[40:41], exec
	s_or_b64 s[42:43], s[42:43], s[48:49]
	s_branch .LBB21_20
.LBB21_23:                              ;   in Loop: Header=BB21_4 Depth=1
	s_or_b64 exec, exec, s[36:37]
	s_and_saveexec_b64 s[36:37], s[38:39]
	s_xor_b64 s[36:37], exec, s[36:37]
	s_cbranch_execz .LBB21_25
; %bb.24:                               ;   in Loop: Header=BB21_4 Depth=1
	v_lshl_add_u64 v[22:23], v[28:29], 3, s[18:19]
	global_load_dwordx2 v[22:23], v[22:23], off
	s_waitcnt vmcnt(0)
	v_fmac_f64_e32 v[24:25], v[22:23], v[16:17]
.LBB21_25:                              ;   in Loop: Header=BB21_4 Depth=1
	s_or_b64 exec, exec, s[36:37]
.LBB21_26:                              ;   in Loop: Header=BB21_4 Depth=1
	s_or_b64 exec, exec, s[4:5]
	v_add_f64 v[18:19], v[18:19], -v[20:21]
	s_waitcnt vmcnt(0)
	v_div_scale_f64 v[20:21], s[4:5], v[16:17], v[16:17], v[18:19]
	v_rcp_f64_e32 v[22:23], v[20:21]
	v_div_scale_f64 v[26:27], vcc, v[18:19], v[16:17], v[18:19]
	v_fma_f64 v[28:29], -v[20:21], v[22:23], 1.0
	v_fmac_f64_e32 v[22:23], v[22:23], v[28:29]
	v_fma_f64 v[28:29], -v[20:21], v[22:23], 1.0
	v_fmac_f64_e32 v[22:23], v[22:23], v[28:29]
	v_mul_f64 v[28:29], v[26:27], v[22:23]
	v_fma_f64 v[20:21], -v[20:21], v[28:29], v[26:27]
	v_div_fmas_f64 v[20:21], v[20:21], v[22:23], v[28:29]
	v_div_fixup_f64 v[20:21], v[20:21], v[16:17], v[18:19]
	v_cmp_gt_i32_e32 vcc, v6, v14
	s_nop 1
	v_cndmask_b32_e32 v19, v19, v21, vcc
	v_cndmask_b32_e32 v18, v18, v20, vcc
	v_cmp_class_f64_e64 s[36:37], v[18:19], s47
	s_and_saveexec_b64 s[4:5], s[36:37]
	s_cbranch_execz .LBB21_3
; %bb.27:                               ;   in Loop: Header=BB21_4 Depth=1
	v_lshl_add_u64 v[20:21], v[12:13], 3, s[18:19]
	global_store_dwordx2 v[20:21], v[18:19], off
	s_branch .LBB21_3
.LBB21_28:
	s_or_b64 exec, exec, s[30:31]
.LBB21_29:
	s_or_b64 exec, exec, s[6:7]
	v_or_b32_e32 v24, 0x200, v6
	v_cmp_gt_i32_e32 vcc, s46, v24
	s_and_saveexec_b64 s[6:7], vcc
	s_cbranch_execz .LBB21_59
; %bb.30:
	global_load_dword v6, v[8:9], off offset:2048
	global_load_dword v12, v[10:11], off offset:2048
	s_waitcnt vmcnt(1)
	v_subrev_u32_e32 v25, s33, v6
	s_waitcnt vmcnt(0)
	v_add_u32_e32 v6, v7, v12
	v_cmp_lt_i32_e32 vcc, v6, v25
	s_and_saveexec_b64 s[30:31], vcc
	s_cbranch_execz .LBB21_58
; %bb.31:
	v_lshl_add_u64 v[8:9], s[22:23], 0, v[4:5]
	v_lshl_add_u64 v[4:5], s[20:21], 0, v[4:5]
	global_load_dword v7, v[8:9], off offset:2048
	s_mov_b32 s34, 0
	global_load_dword v4, v[4:5], off offset:2048
	s_mov_b64 s[20:21], 0
	s_movk_i32 s46, 0x1f8
	s_mov_b32 s35, 0x7ff00000
	s_waitcnt vmcnt(1)
	v_subrev_u32_e32 v26, s33, v7
	s_waitcnt vmcnt(0)
	v_subrev_u32_e32 v27, s33, v4
	v_cmp_lt_i32_e64 s[2:3], v4, v7
	s_branch .LBB21_33
.LBB21_32:                              ;   in Loop: Header=BB21_33 Depth=1
	s_or_b64 exec, exec, s[4:5]
	v_add_f64 v[8:9], v[8:9], v[16:17]
	v_cmp_eq_u32_e32 vcc, v24, v4
	v_add_u32_e32 v6, 2, v6
	s_nop 0
	v_cndmask_b32_e32 v5, v17, v9, vcc
	v_cndmask_b32_e32 v4, v16, v8, vcc
	v_cmp_nlg_f64_e64 s[4:5], |v[4:5]|, s[34:35]
	v_cmp_gt_f64_e64 s[36:37], v[2:3], |v[4:5]|
	v_and_b32_e32 v7, 0x7fffffff, v5
	s_or_b64 vcc, s[4:5], s[36:37]
	v_cmp_ge_i32_e64 s[4:5], v6, v25
	v_cndmask_b32_e32 v3, v7, v3, vcc
	s_or_b64 s[20:21], s[4:5], s[20:21]
	v_cndmask_b32_e32 v2, v4, v2, vcc
	s_andn2_b64 exec, exec, s[20:21]
	s_cbranch_execz .LBB21_57
.LBB21_33:                              ; =>This Loop Header: Depth=1
                                        ;     Child Loop BB21_36 Depth 2
                                        ;     Child Loop BB21_42 Depth 2
	;; [unrolled: 1-line block ×3, first 2 shown]
	v_ashrrev_i32_e32 v7, 31, v6
	v_lshl_add_u64 v[4:5], v[6:7], 2, s[8:9]
	global_load_dword v28, v[4:5], off
	v_lshl_add_u64 v[12:13], v[6:7], 3, s[10:11]
	s_waitcnt vmcnt(0)
	v_subrev_u32_e32 v4, s33, v28
	v_ashrrev_i32_e32 v5, 31, v4
	v_lshlrev_b64 v[8:9], 2, v[4:5]
	v_lshl_add_u64 v[10:11], s[22:23], 0, v[8:9]
	global_load_dword v5, v[10:11], off
	v_lshl_add_u64 v[10:11], s[12:13], 0, v[8:9]
	v_lshl_add_u64 v[8:9], s[26:27], 0, v[8:9]
	global_load_dword v14, v[10:11], off
	global_load_dword v15, v[8:9], off
	s_nop 0
	global_load_dwordx2 v[10:11], v[12:13], off
	v_mov_b64_e32 v[12:13], 0
	s_waitcnt vmcnt(3)
	v_subrev_u32_e32 v8, s33, v5
	v_ashrrev_i32_e32 v9, 31, v8
	v_lshl_add_u64 v[8:9], v[8:9], 3, s[18:19]
	global_load_dwordx2 v[8:9], v[8:9], off
	s_waitcnt vmcnt(2)
	v_cmp_lt_i32_e32 vcc, v15, v14
	v_subrev_u32_e32 v5, s33, v14
	v_subrev_u32_e32 v18, s33, v15
	s_and_b64 s[4:5], s[2:3], vcc
	v_mov_b32_e32 v14, v27
	s_and_saveexec_b64 s[36:37], s[4:5]
	s_cbranch_execz .LBB21_39
; %bb.34:                               ;   in Loop: Header=BB21_33 Depth=1
	v_mov_b64_e32 v[12:13], 0
	s_mov_b64 s[38:39], 0
	v_mov_b32_e32 v14, v27
	s_branch .LBB21_36
.LBB21_35:                              ;   in Loop: Header=BB21_36 Depth=2
	s_or_b64 exec, exec, s[4:5]
	v_cmp_le_i32_e32 vcc, v16, v17
	s_nop 1
	v_addc_co_u32_e32 v14, vcc, 0, v14, vcc
	v_cmp_ge_i32_e32 vcc, v16, v17
	s_nop 1
	v_addc_co_u32_e32 v18, vcc, 0, v18, vcc
	v_cmp_ge_i32_e32 vcc, v14, v26
	v_cmp_ge_i32_e64 s[4:5], v18, v5
	s_or_b64 s[4:5], vcc, s[4:5]
	s_and_b64 s[4:5], exec, s[4:5]
	s_or_b64 s[38:39], s[4:5], s[38:39]
	s_andn2_b64 exec, exec, s[38:39]
	s_cbranch_execz .LBB21_38
.LBB21_36:                              ;   Parent Loop BB21_33 Depth=1
                                        ; =>  This Inner Loop Header: Depth=2
	v_ashrrev_i32_e32 v15, 31, v14
	v_ashrrev_i32_e32 v19, 31, v18
	v_lshl_add_u64 v[16:17], v[14:15], 2, s[24:25]
	v_lshl_add_u64 v[20:21], v[18:19], 2, s[14:15]
	global_load_dword v16, v[16:17], off
	s_nop 0
	global_load_dword v17, v[20:21], off
	s_waitcnt vmcnt(0)
	v_cmp_eq_u32_e32 vcc, v16, v17
	s_and_saveexec_b64 s[4:5], vcc
	s_cbranch_execz .LBB21_35
; %bb.37:                               ;   in Loop: Header=BB21_36 Depth=2
	v_lshl_add_u64 v[20:21], v[18:19], 2, s[16:17]
	global_load_dword v20, v[20:21], off
	v_lshl_add_u64 v[22:23], v[14:15], 3, s[18:19]
	global_load_dwordx2 v[22:23], v[22:23], off
	s_waitcnt vmcnt(1)
	v_ashrrev_i32_e32 v21, 31, v20
	v_lshl_add_u64 v[20:21], v[20:21], 3, s[18:19]
	global_load_dwordx2 v[20:21], v[20:21], off
	s_waitcnt vmcnt(0)
	v_fmac_f64_e32 v[12:13], v[22:23], v[20:21]
	s_branch .LBB21_35
.LBB21_38:                              ;   in Loop: Header=BB21_33 Depth=1
	s_or_b64 exec, exec, s[38:39]
.LBB21_39:                              ;   in Loop: Header=BB21_33 Depth=1
	s_or_b64 exec, exec, s[36:37]
	s_waitcnt vmcnt(1)
	v_add_f64 v[16:17], v[12:13], -v[10:11]
	v_cmp_lt_i32_e32 vcc, v18, v5
	s_and_saveexec_b64 s[4:5], vcc
	s_cbranch_execz .LBB21_47
; %bb.40:                               ;   in Loop: Header=BB21_33 Depth=1
	v_ashrrev_i32_e32 v19, 31, v18
	v_lshl_add_u64 v[20:21], v[18:19], 2, s[14:15]
	s_mov_b64 s[38:39], 0
                                        ; implicit-def: $sgpr36_sgpr37
                                        ; implicit-def: $sgpr42_sgpr43
                                        ; implicit-def: $sgpr40_sgpr41
	s_branch .LBB21_42
.LBB21_41:                              ;   in Loop: Header=BB21_42 Depth=2
	s_or_b64 exec, exec, s[44:45]
	s_and_b64 s[44:45], exec, s[42:43]
	s_or_b64 s[38:39], s[44:45], s[38:39]
	s_andn2_b64 s[36:37], s[36:37], exec
	s_and_b64 s[44:45], s[40:41], exec
	s_or_b64 s[36:37], s[36:37], s[44:45]
	s_andn2_b64 exec, exec, s[38:39]
	s_cbranch_execz .LBB21_44
.LBB21_42:                              ;   Parent Loop BB21_33 Depth=1
                                        ; =>  This Inner Loop Header: Depth=2
	global_load_dword v15, v[20:21], off
	v_mov_b64_e32 v[22:23], v[18:19]
	s_or_b64 s[40:41], s[40:41], exec
	s_or_b64 s[42:43], s[42:43], exec
                                        ; implicit-def: $vgpr18_vgpr19
	s_waitcnt vmcnt(0)
	v_subrev_u32_e32 v15, s33, v15
	v_cmp_ne_u32_e32 vcc, v15, v24
	s_and_saveexec_b64 s[44:45], vcc
	s_cbranch_execz .LBB21_41
; %bb.43:                               ;   in Loop: Header=BB21_42 Depth=2
	v_lshl_add_u64 v[18:19], v[22:23], 0, 1
	v_cmp_ge_i32_e32 vcc, v18, v5
	s_andn2_b64 s[42:43], s[42:43], exec
	s_and_b64 s[48:49], vcc, exec
	v_lshl_add_u64 v[20:21], v[20:21], 0, 4
	s_andn2_b64 s[40:41], s[40:41], exec
	s_or_b64 s[42:43], s[42:43], s[48:49]
	s_branch .LBB21_41
.LBB21_44:                              ;   in Loop: Header=BB21_33 Depth=1
	s_or_b64 exec, exec, s[38:39]
	s_and_saveexec_b64 s[38:39], s[36:37]
	s_xor_b64 s[36:37], exec, s[38:39]
	s_cbranch_execz .LBB21_46
; %bb.45:                               ;   in Loop: Header=BB21_33 Depth=1
	v_lshl_add_u64 v[18:19], v[22:23], 2, s[16:17]
	global_load_dword v18, v[18:19], off
	s_waitcnt vmcnt(0)
	v_ashrrev_i32_e32 v19, 31, v18
	v_lshl_add_u64 v[18:19], v[18:19], 3, s[18:19]
	global_load_dwordx2 v[18:19], v[18:19], off
	s_waitcnt vmcnt(0)
	v_add_f64 v[16:17], v[16:17], v[18:19]
.LBB21_46:                              ;   in Loop: Header=BB21_33 Depth=1
	s_or_b64 exec, exec, s[36:37]
.LBB21_47:                              ;   in Loop: Header=BB21_33 Depth=1
	s_or_b64 exec, exec, s[4:5]
	v_cmp_lt_i32_e32 vcc, v14, v26
	s_and_saveexec_b64 s[4:5], vcc
	s_cbranch_execz .LBB21_55
; %bb.48:                               ;   in Loop: Header=BB21_33 Depth=1
	v_ashrrev_i32_e32 v15, 31, v14
	v_lshl_add_u64 v[18:19], v[14:15], 2, s[24:25]
	s_mov_b64 s[38:39], 0
                                        ; implicit-def: $sgpr36_sgpr37
                                        ; implicit-def: $sgpr42_sgpr43
                                        ; implicit-def: $sgpr40_sgpr41
	s_branch .LBB21_50
.LBB21_49:                              ;   in Loop: Header=BB21_50 Depth=2
	s_or_b64 exec, exec, s[44:45]
	s_and_b64 s[44:45], exec, s[42:43]
	s_or_b64 s[38:39], s[44:45], s[38:39]
	s_andn2_b64 s[36:37], s[36:37], exec
	s_and_b64 s[44:45], s[40:41], exec
	s_or_b64 s[36:37], s[36:37], s[44:45]
	s_andn2_b64 exec, exec, s[38:39]
	s_cbranch_execz .LBB21_52
.LBB21_50:                              ;   Parent Loop BB21_33 Depth=1
                                        ; =>  This Inner Loop Header: Depth=2
	global_load_dword v5, v[18:19], off
	v_mov_b64_e32 v[20:21], v[14:15]
	s_or_b64 s[40:41], s[40:41], exec
	s_or_b64 s[42:43], s[42:43], exec
                                        ; implicit-def: $vgpr14_vgpr15
	s_waitcnt vmcnt(0)
	v_cmp_ne_u32_e32 vcc, v5, v28
	s_and_saveexec_b64 s[44:45], vcc
	s_cbranch_execz .LBB21_49
; %bb.51:                               ;   in Loop: Header=BB21_50 Depth=2
	v_lshl_add_u64 v[14:15], v[20:21], 0, 1
	v_cmp_ge_i32_e32 vcc, v14, v26
	s_andn2_b64 s[42:43], s[42:43], exec
	s_and_b64 s[48:49], vcc, exec
	v_lshl_add_u64 v[18:19], v[18:19], 0, 4
	s_andn2_b64 s[40:41], s[40:41], exec
	s_or_b64 s[42:43], s[42:43], s[48:49]
	s_branch .LBB21_49
.LBB21_52:                              ;   in Loop: Header=BB21_33 Depth=1
	s_or_b64 exec, exec, s[38:39]
	s_and_saveexec_b64 s[38:39], s[36:37]
	s_xor_b64 s[36:37], exec, s[38:39]
	s_cbranch_execz .LBB21_54
; %bb.53:                               ;   in Loop: Header=BB21_33 Depth=1
	v_lshl_add_u64 v[14:15], v[20:21], 3, s[18:19]
	global_load_dwordx2 v[14:15], v[14:15], off
	s_waitcnt vmcnt(0)
	v_fmac_f64_e32 v[16:17], v[14:15], v[8:9]
.LBB21_54:                              ;   in Loop: Header=BB21_33 Depth=1
	s_or_b64 exec, exec, s[36:37]
.LBB21_55:                              ;   in Loop: Header=BB21_33 Depth=1
	s_or_b64 exec, exec, s[4:5]
	v_add_f64 v[10:11], v[10:11], -v[12:13]
	s_waitcnt vmcnt(0)
	v_div_scale_f64 v[12:13], s[4:5], v[8:9], v[8:9], v[10:11]
	v_rcp_f64_e32 v[14:15], v[12:13]
	v_div_scale_f64 v[18:19], vcc, v[10:11], v[8:9], v[10:11]
	v_fma_f64 v[20:21], -v[12:13], v[14:15], 1.0
	v_fmac_f64_e32 v[14:15], v[14:15], v[20:21]
	v_fma_f64 v[20:21], -v[12:13], v[14:15], 1.0
	v_fmac_f64_e32 v[14:15], v[14:15], v[20:21]
	v_mul_f64 v[20:21], v[18:19], v[14:15]
	v_fma_f64 v[12:13], -v[12:13], v[20:21], v[18:19]
	v_div_fmas_f64 v[12:13], v[12:13], v[14:15], v[20:21]
	v_div_fixup_f64 v[12:13], v[12:13], v[8:9], v[10:11]
	v_cmp_gt_i32_e32 vcc, v24, v4
	s_nop 1
	v_cndmask_b32_e32 v11, v11, v13, vcc
	v_cndmask_b32_e32 v10, v10, v12, vcc
	v_cmp_class_f64_e64 s[36:37], v[10:11], s46
	s_and_saveexec_b64 s[4:5], s[36:37]
	s_cbranch_execz .LBB21_32
; %bb.56:                               ;   in Loop: Header=BB21_33 Depth=1
	v_lshl_add_u64 v[12:13], v[6:7], 3, s[18:19]
	global_store_dwordx2 v[12:13], v[10:11], off
	s_branch .LBB21_32
.LBB21_57:
	s_or_b64 exec, exec, s[20:21]
.LBB21_58:
	s_or_b64 exec, exec, s[30:31]
.LBB21_59:
	s_or_b64 exec, exec, s[6:7]
.LBB21_60:
	s_or_b64 exec, exec, s[28:29]
	v_mov_b32_dpp v4, v2 row_shr:1 row_mask:0xf bank_mask:0xf
	v_mov_b32_dpp v6, v3 row_shr:1 row_mask:0xf bank_mask:0xf
	v_cmp_ne_u32_e32 vcc, 0, v32
	s_and_saveexec_b64 s[2:3], vcc
	s_cbranch_execz .LBB21_62
; %bb.61:
	v_mov_b32_e32 v5, v6
	v_cmp_lt_f64_e32 vcc, v[2:3], v[4:5]
	v_lshlrev_b32_e32 v1, 3, v1
	s_nop 0
	v_cndmask_b32_e32 v3, v3, v6, vcc
	v_cndmask_b32_e32 v2, v2, v4, vcc
	ds_write_b64 v1, v[2:3]
.LBB21_62:
	s_or_b64 exec, exec, s[2:3]
	s_movk_i32 s2, 0x100
	v_cmp_gt_u32_e32 vcc, s2, v0
	v_lshlrev_b32_e32 v1, 3, v0
	s_waitcnt lgkmcnt(0)
	s_barrier
	s_and_saveexec_b64 s[2:3], vcc
	s_cbranch_execz .LBB21_64
; %bb.63:
	ds_read2st64_b64 v[2:5], v1 offset1:4
	s_waitcnt lgkmcnt(0)
	v_cmp_lt_f64_e32 vcc, v[2:3], v[4:5]
	s_nop 1
	v_cndmask_b32_e32 v3, v3, v5, vcc
	v_cndmask_b32_e32 v2, v2, v4, vcc
	ds_write_b64 v1, v[2:3]
.LBB21_64:
	s_or_b64 exec, exec, s[2:3]
	s_movk_i32 s2, 0x80
	v_cmp_gt_u32_e32 vcc, s2, v0
	s_waitcnt lgkmcnt(0)
	s_barrier
	s_and_saveexec_b64 s[2:3], vcc
	s_cbranch_execz .LBB21_66
; %bb.65:
	ds_read2st64_b64 v[2:5], v1 offset1:2
	s_waitcnt lgkmcnt(0)
	v_cmp_lt_f64_e32 vcc, v[2:3], v[4:5]
	s_nop 1
	v_cndmask_b32_e32 v3, v3, v5, vcc
	v_cndmask_b32_e32 v2, v2, v4, vcc
	ds_write_b64 v1, v[2:3]
.LBB21_66:
	s_or_b64 exec, exec, s[2:3]
	v_cmp_gt_u32_e32 vcc, 64, v0
	s_waitcnt lgkmcnt(0)
	s_barrier
	s_and_saveexec_b64 s[2:3], vcc
	s_cbranch_execz .LBB21_68
; %bb.67:
	ds_read2st64_b64 v[2:5], v1 offset1:1
	s_waitcnt lgkmcnt(0)
	v_cmp_lt_f64_e32 vcc, v[2:3], v[4:5]
	s_nop 1
	v_cndmask_b32_e32 v3, v3, v5, vcc
	v_cndmask_b32_e32 v2, v2, v4, vcc
	ds_write_b64 v1, v[2:3]
.LBB21_68:
	s_or_b64 exec, exec, s[2:3]
	v_cmp_gt_u32_e32 vcc, 32, v0
	s_waitcnt lgkmcnt(0)
	s_barrier
	s_and_saveexec_b64 s[2:3], vcc
	s_cbranch_execz .LBB21_70
; %bb.69:
	ds_read2_b64 v[2:5], v1 offset1:32
	s_waitcnt lgkmcnt(0)
	v_cmp_lt_f64_e32 vcc, v[2:3], v[4:5]
	s_nop 1
	v_cndmask_b32_e32 v3, v3, v5, vcc
	v_cndmask_b32_e32 v2, v2, v4, vcc
	ds_write_b64 v1, v[2:3]
.LBB21_70:
	s_or_b64 exec, exec, s[2:3]
	v_cmp_gt_u32_e32 vcc, 16, v0
	s_waitcnt lgkmcnt(0)
	s_barrier
	s_and_saveexec_b64 s[2:3], vcc
	s_cbranch_execz .LBB21_72
; %bb.71:
	ds_read2_b64 v[2:5], v1 offset1:16
	s_waitcnt lgkmcnt(0)
	v_cmp_lt_f64_e32 vcc, v[2:3], v[4:5]
	s_nop 1
	v_cndmask_b32_e32 v3, v3, v5, vcc
	v_cndmask_b32_e32 v2, v2, v4, vcc
	ds_write_b64 v1, v[2:3]
.LBB21_72:
	;; [unrolled: 15-line block ×5, first 2 shown]
	s_or_b64 exec, exec, s[2:3]
	v_cmp_eq_u32_e32 vcc, 0, v0
	s_waitcnt lgkmcnt(0)
	s_barrier
	s_and_saveexec_b64 s[4:5], vcc
	s_cbranch_execz .LBB21_80
; %bb.79:
	v_mov_b32_e32 v4, 0
	ds_read_b128 v[0:3], v4
	s_waitcnt lgkmcnt(0)
	v_cmp_lt_f64_e64 s[2:3], v[0:1], v[2:3]
	s_nop 1
	v_cndmask_b32_e64 v1, v1, v3, s[2:3]
	v_cndmask_b32_e64 v0, v0, v2, s[2:3]
	ds_write_b64 v4, v[0:1]
.LBB21_80:
	s_or_b64 exec, exec, s[4:5]
	s_waitcnt lgkmcnt(0)
	s_barrier
	s_and_saveexec_b64 s[2:3], vcc
	s_cbranch_execz .LBB21_83
; %bb.81:
	v_mbcnt_lo_u32_b32 v0, exec_lo, 0
	v_mbcnt_hi_u32_b32 v0, exec_hi, v0
	v_cmp_eq_u32_e32 vcc, 0, v0
	s_and_b64 exec, exec, vcc
	s_cbranch_execz .LBB21_83
; %bb.82:
	s_load_dwordx4 s[0:3], s[0:1], 0x70
	v_mov_b32_e32 v10, 0
	ds_read_b64 v[0:1], v10
	s_waitcnt lgkmcnt(0)
	s_load_dwordx2 s[2:3], s[2:3], 0x0
	s_waitcnt lgkmcnt(0)
	v_div_scale_f64 v[2:3], s[4:5], s[2:3], s[2:3], v[0:1]
	v_rcp_f64_e32 v[4:5], v[2:3]
	v_div_scale_f64 v[6:7], vcc, v[0:1], s[2:3], v[0:1]
	v_fma_f64 v[8:9], -v[2:3], v[4:5], 1.0
	v_fmac_f64_e32 v[4:5], v[4:5], v[8:9]
	v_fma_f64 v[8:9], -v[2:3], v[4:5], 1.0
	v_fmac_f64_e32 v[4:5], v[4:5], v[8:9]
	v_mul_f64 v[8:9], v[6:7], v[4:5]
	v_fma_f64 v[2:3], -v[2:3], v[8:9], v[6:7]
	v_div_fmas_f64 v[2:3], v[2:3], v[4:5], v[8:9]
	v_div_fixup_f64 v[0:1], v[2:3], s[2:3], v[0:1]
	global_atomic_max_f64 v10, v[0:1], s[0:1]
.LBB21_83:
	s_endpgm
	.section	.rodata,"a",@progbits
	.p2align	6, 0x0
	.amdhsa_kernel _ZN9rocsparseL16kernel_calculateILi1024ELi2ELb1EdiiEEvT4_T3_PKS2_S4_PKS1_PKT2_21rocsparse_index_base_S4_S4_S6_S4_S4_S6_S4_PS7_PNS_15floating_traitsIS7_E6data_tEPKSE_
		.amdhsa_group_segment_fixed_size 4096
		.amdhsa_private_segment_fixed_size 0
		.amdhsa_kernarg_size 128
		.amdhsa_user_sgpr_count 2
		.amdhsa_user_sgpr_dispatch_ptr 0
		.amdhsa_user_sgpr_queue_ptr 0
		.amdhsa_user_sgpr_kernarg_segment_ptr 1
		.amdhsa_user_sgpr_dispatch_id 0
		.amdhsa_user_sgpr_kernarg_preload_length 0
		.amdhsa_user_sgpr_kernarg_preload_offset 0
		.amdhsa_user_sgpr_private_segment_size 0
		.amdhsa_uses_dynamic_stack 0
		.amdhsa_enable_private_segment 0
		.amdhsa_system_sgpr_workgroup_id_x 1
		.amdhsa_system_sgpr_workgroup_id_y 0
		.amdhsa_system_sgpr_workgroup_id_z 0
		.amdhsa_system_sgpr_workgroup_info 0
		.amdhsa_system_vgpr_workitem_id 0
		.amdhsa_next_free_vgpr 37
		.amdhsa_next_free_sgpr 50
		.amdhsa_accum_offset 40
		.amdhsa_reserve_vcc 1
		.amdhsa_float_round_mode_32 0
		.amdhsa_float_round_mode_16_64 0
		.amdhsa_float_denorm_mode_32 3
		.amdhsa_float_denorm_mode_16_64 3
		.amdhsa_dx10_clamp 1
		.amdhsa_ieee_mode 1
		.amdhsa_fp16_overflow 0
		.amdhsa_tg_split 0
		.amdhsa_exception_fp_ieee_invalid_op 0
		.amdhsa_exception_fp_denorm_src 0
		.amdhsa_exception_fp_ieee_div_zero 0
		.amdhsa_exception_fp_ieee_overflow 0
		.amdhsa_exception_fp_ieee_underflow 0
		.amdhsa_exception_fp_ieee_inexact 0
		.amdhsa_exception_int_div_zero 0
	.end_amdhsa_kernel
	.section	.text._ZN9rocsparseL16kernel_calculateILi1024ELi2ELb1EdiiEEvT4_T3_PKS2_S4_PKS1_PKT2_21rocsparse_index_base_S4_S4_S6_S4_S4_S6_S4_PS7_PNS_15floating_traitsIS7_E6data_tEPKSE_,"axG",@progbits,_ZN9rocsparseL16kernel_calculateILi1024ELi2ELb1EdiiEEvT4_T3_PKS2_S4_PKS1_PKT2_21rocsparse_index_base_S4_S4_S6_S4_S4_S6_S4_PS7_PNS_15floating_traitsIS7_E6data_tEPKSE_,comdat
.Lfunc_end21:
	.size	_ZN9rocsparseL16kernel_calculateILi1024ELi2ELb1EdiiEEvT4_T3_PKS2_S4_PKS1_PKT2_21rocsparse_index_base_S4_S4_S6_S4_S4_S6_S4_PS7_PNS_15floating_traitsIS7_E6data_tEPKSE_, .Lfunc_end21-_ZN9rocsparseL16kernel_calculateILi1024ELi2ELb1EdiiEEvT4_T3_PKS2_S4_PKS1_PKT2_21rocsparse_index_base_S4_S4_S6_S4_S4_S6_S4_PS7_PNS_15floating_traitsIS7_E6data_tEPKSE_
                                        ; -- End function
	.set _ZN9rocsparseL16kernel_calculateILi1024ELi2ELb1EdiiEEvT4_T3_PKS2_S4_PKS1_PKT2_21rocsparse_index_base_S4_S4_S6_S4_S4_S6_S4_PS7_PNS_15floating_traitsIS7_E6data_tEPKSE_.num_vgpr, 37
	.set _ZN9rocsparseL16kernel_calculateILi1024ELi2ELb1EdiiEEvT4_T3_PKS2_S4_PKS1_PKT2_21rocsparse_index_base_S4_S4_S6_S4_S4_S6_S4_PS7_PNS_15floating_traitsIS7_E6data_tEPKSE_.num_agpr, 0
	.set _ZN9rocsparseL16kernel_calculateILi1024ELi2ELb1EdiiEEvT4_T3_PKS2_S4_PKS1_PKT2_21rocsparse_index_base_S4_S4_S6_S4_S4_S6_S4_PS7_PNS_15floating_traitsIS7_E6data_tEPKSE_.numbered_sgpr, 50
	.set _ZN9rocsparseL16kernel_calculateILi1024ELi2ELb1EdiiEEvT4_T3_PKS2_S4_PKS1_PKT2_21rocsparse_index_base_S4_S4_S6_S4_S4_S6_S4_PS7_PNS_15floating_traitsIS7_E6data_tEPKSE_.num_named_barrier, 0
	.set _ZN9rocsparseL16kernel_calculateILi1024ELi2ELb1EdiiEEvT4_T3_PKS2_S4_PKS1_PKT2_21rocsparse_index_base_S4_S4_S6_S4_S4_S6_S4_PS7_PNS_15floating_traitsIS7_E6data_tEPKSE_.private_seg_size, 0
	.set _ZN9rocsparseL16kernel_calculateILi1024ELi2ELb1EdiiEEvT4_T3_PKS2_S4_PKS1_PKT2_21rocsparse_index_base_S4_S4_S6_S4_S4_S6_S4_PS7_PNS_15floating_traitsIS7_E6data_tEPKSE_.uses_vcc, 1
	.set _ZN9rocsparseL16kernel_calculateILi1024ELi2ELb1EdiiEEvT4_T3_PKS2_S4_PKS1_PKT2_21rocsparse_index_base_S4_S4_S6_S4_S4_S6_S4_PS7_PNS_15floating_traitsIS7_E6data_tEPKSE_.uses_flat_scratch, 0
	.set _ZN9rocsparseL16kernel_calculateILi1024ELi2ELb1EdiiEEvT4_T3_PKS2_S4_PKS1_PKT2_21rocsparse_index_base_S4_S4_S6_S4_S4_S6_S4_PS7_PNS_15floating_traitsIS7_E6data_tEPKSE_.has_dyn_sized_stack, 0
	.set _ZN9rocsparseL16kernel_calculateILi1024ELi2ELb1EdiiEEvT4_T3_PKS2_S4_PKS1_PKT2_21rocsparse_index_base_S4_S4_S6_S4_S4_S6_S4_PS7_PNS_15floating_traitsIS7_E6data_tEPKSE_.has_recursion, 0
	.set _ZN9rocsparseL16kernel_calculateILi1024ELi2ELb1EdiiEEvT4_T3_PKS2_S4_PKS1_PKT2_21rocsparse_index_base_S4_S4_S6_S4_S4_S6_S4_PS7_PNS_15floating_traitsIS7_E6data_tEPKSE_.has_indirect_call, 0
	.section	.AMDGPU.csdata,"",@progbits
; Kernel info:
; codeLenInByte = 3280
; TotalNumSgprs: 56
; NumVgprs: 37
; NumAgprs: 0
; TotalNumVgprs: 37
; ScratchSize: 0
; MemoryBound: 1
; FloatMode: 240
; IeeeMode: 1
; LDSByteSize: 4096 bytes/workgroup (compile time only)
; SGPRBlocks: 6
; VGPRBlocks: 4
; NumSGPRsForWavesPerEU: 56
; NumVGPRsForWavesPerEU: 37
; AccumOffset: 40
; Occupancy: 8
; WaveLimiterHint : 1
; COMPUTE_PGM_RSRC2:SCRATCH_EN: 0
; COMPUTE_PGM_RSRC2:USER_SGPR: 2
; COMPUTE_PGM_RSRC2:TRAP_HANDLER: 0
; COMPUTE_PGM_RSRC2:TGID_X_EN: 1
; COMPUTE_PGM_RSRC2:TGID_Y_EN: 0
; COMPUTE_PGM_RSRC2:TGID_Z_EN: 0
; COMPUTE_PGM_RSRC2:TIDIG_COMP_CNT: 0
; COMPUTE_PGM_RSRC3_GFX90A:ACCUM_OFFSET: 9
; COMPUTE_PGM_RSRC3_GFX90A:TG_SPLIT: 0
	.section	.text._ZN9rocsparseL16kernel_calculateILi1024ELi4ELb1EdiiEEvT4_T3_PKS2_S4_PKS1_PKT2_21rocsparse_index_base_S4_S4_S6_S4_S4_S6_S4_PS7_PNS_15floating_traitsIS7_E6data_tEPKSE_,"axG",@progbits,_ZN9rocsparseL16kernel_calculateILi1024ELi4ELb1EdiiEEvT4_T3_PKS2_S4_PKS1_PKT2_21rocsparse_index_base_S4_S4_S6_S4_S4_S6_S4_PS7_PNS_15floating_traitsIS7_E6data_tEPKSE_,comdat
	.globl	_ZN9rocsparseL16kernel_calculateILi1024ELi4ELb1EdiiEEvT4_T3_PKS2_S4_PKS1_PKT2_21rocsparse_index_base_S4_S4_S6_S4_S4_S6_S4_PS7_PNS_15floating_traitsIS7_E6data_tEPKSE_ ; -- Begin function _ZN9rocsparseL16kernel_calculateILi1024ELi4ELb1EdiiEEvT4_T3_PKS2_S4_PKS1_PKT2_21rocsparse_index_base_S4_S4_S6_S4_S4_S6_S4_PS7_PNS_15floating_traitsIS7_E6data_tEPKSE_
	.p2align	8
	.type	_ZN9rocsparseL16kernel_calculateILi1024ELi4ELb1EdiiEEvT4_T3_PKS2_S4_PKS1_PKT2_21rocsparse_index_base_S4_S4_S6_S4_S4_S6_S4_PS7_PNS_15floating_traitsIS7_E6data_tEPKSE_,@function
_ZN9rocsparseL16kernel_calculateILi1024ELi4ELb1EdiiEEvT4_T3_PKS2_S4_PKS1_PKT2_21rocsparse_index_base_S4_S4_S6_S4_S4_S6_S4_PS7_PNS_15floating_traitsIS7_E6data_tEPKSE_: ; @_ZN9rocsparseL16kernel_calculateILi1024ELi4ELb1EdiiEEvT4_T3_PKS2_S4_PKS1_PKT2_21rocsparse_index_base_S4_S4_S6_S4_S4_S6_S4_PS7_PNS_15floating_traitsIS7_E6data_tEPKSE_
; %bb.0:
	s_load_dword s33, s[0:1], 0x0
	v_lshrrev_b32_e32 v1, 2, v0
	v_lshl_or_b32 v27, s2, 10, v1
	v_and_b32_e32 v26, 3, v0
	v_mov_b64_e32 v[2:3], 0
	s_waitcnt lgkmcnt(0)
	v_cmp_gt_i32_e32 vcc, s33, v27
	s_and_saveexec_b64 s[6:7], vcc
	s_cbranch_execz .LBB22_33
; %bb.1:
	s_load_dword s52, s[0:1], 0x28
	s_load_dwordx8 s[8:15], s[0:1], 0x50
	s_load_dwordx8 s[16:23], s[0:1], 0x30
	s_load_dwordx8 s[24:31], s[0:1], 0x8
	s_mov_b32 s34, 0
	v_mov_b64_e32 v[2:3], 0
	s_waitcnt lgkmcnt(0)
	v_subrev_u32_e32 v28, s52, v26
	s_mov_b32 s53, 0
	s_movk_i32 s54, 0x1f8
	s_mov_b32 s35, 0x7ff00000
	s_branch .LBB22_5
.LBB22_2:                               ;   in Loop: Header=BB22_5 Depth=1
	s_or_b64 exec, exec, s[40:41]
.LBB22_3:                               ;   in Loop: Header=BB22_5 Depth=1
	s_or_b64 exec, exec, s[38:39]
.LBB22_4:                               ;   in Loop: Header=BB22_5 Depth=1
	s_or_b64 exec, exec, s[36:37]
	s_add_i32 s53, s53, 1
	s_cmp_lg_u32 s53, 4
	s_cbranch_scc0 .LBB22_33
.LBB22_5:                               ; =>This Loop Header: Depth=1
                                        ;     Child Loop BB22_9 Depth 2
                                        ;       Child Loop BB22_12 Depth 3
                                        ;       Child Loop BB22_18 Depth 3
	;; [unrolled: 1-line block ×3, first 2 shown]
	v_lshl_add_u32 v4, s53, 8, v27
	v_cmp_gt_i32_e32 vcc, s33, v4
	s_and_saveexec_b64 s[36:37], vcc
	s_cbranch_execz .LBB22_4
; %bb.6:                                ;   in Loop: Header=BB22_5 Depth=1
	v_ashrrev_i32_e32 v5, 31, v4
	v_lshlrev_b64 v[8:9], 2, v[4:5]
	v_lshl_add_u64 v[6:7], s[26:27], 0, v[8:9]
	global_load_dword v5, v[6:7], off
	v_lshl_add_u64 v[6:7], s[24:25], 0, v[8:9]
	global_load_dword v6, v[6:7], off
	s_waitcnt vmcnt(1)
	v_subrev_u32_e32 v5, s52, v5
	s_waitcnt vmcnt(0)
	v_add_u32_e32 v6, v28, v6
	v_cmp_lt_i32_e32 vcc, v6, v5
	s_and_saveexec_b64 s[38:39], vcc
	s_cbranch_execz .LBB22_3
; %bb.7:                                ;   in Loop: Header=BB22_5 Depth=1
	v_lshl_add_u64 v[10:11], s[18:19], 0, v[8:9]
	v_lshl_add_u64 v[8:9], s[16:17], 0, v[8:9]
	global_load_dword v7, v[10:11], off
	s_mov_b64 s[40:41], 0
	global_load_dword v8, v[8:9], off
	s_waitcnt vmcnt(1)
	v_subrev_u32_e32 v29, s52, v7
	s_waitcnt vmcnt(0)
	v_subrev_u32_e32 v30, s52, v8
	v_cmp_lt_i32_e64 s[2:3], v8, v7
	s_branch .LBB22_9
.LBB22_8:                               ;   in Loop: Header=BB22_9 Depth=2
	s_or_b64 exec, exec, s[4:5]
	v_add_f64 v[10:11], v[10:11], v[18:19]
	v_cmp_eq_u32_e32 vcc, v4, v8
	v_add_u32_e32 v6, 4, v6
	s_nop 0
	v_cndmask_b32_e32 v9, v19, v11, vcc
	v_cndmask_b32_e32 v8, v18, v10, vcc
	v_cmp_nlg_f64_e64 s[4:5], |v[8:9]|, s[34:35]
	v_cmp_gt_f64_e64 s[42:43], v[2:3], |v[8:9]|
	v_and_b32_e32 v7, 0x7fffffff, v9
	s_or_b64 vcc, s[4:5], s[42:43]
	v_cmp_ge_i32_e64 s[4:5], v6, v5
	v_cndmask_b32_e32 v3, v7, v3, vcc
	s_or_b64 s[40:41], s[4:5], s[40:41]
	v_cndmask_b32_e32 v2, v8, v2, vcc
	s_andn2_b64 exec, exec, s[40:41]
	s_cbranch_execz .LBB22_2
.LBB22_9:                               ;   Parent Loop BB22_5 Depth=1
                                        ; =>  This Loop Header: Depth=2
                                        ;       Child Loop BB22_12 Depth 3
                                        ;       Child Loop BB22_18 Depth 3
	;; [unrolled: 1-line block ×3, first 2 shown]
	v_ashrrev_i32_e32 v7, 31, v6
	v_lshl_add_u64 v[8:9], v[6:7], 2, s[28:29]
	global_load_dword v31, v[8:9], off
	v_lshl_add_u64 v[14:15], v[6:7], 3, s[30:31]
	s_waitcnt vmcnt(0)
	v_subrev_u32_e32 v8, s52, v31
	v_ashrrev_i32_e32 v9, 31, v8
	v_lshlrev_b64 v[10:11], 2, v[8:9]
	v_lshl_add_u64 v[12:13], s[18:19], 0, v[10:11]
	global_load_dword v9, v[12:13], off
	v_lshl_add_u64 v[12:13], s[8:9], 0, v[10:11]
	v_lshl_add_u64 v[10:11], s[22:23], 0, v[10:11]
	global_load_dword v16, v[12:13], off
	global_load_dword v17, v[10:11], off
	s_nop 0
	global_load_dwordx2 v[12:13], v[14:15], off
	v_mov_b64_e32 v[14:15], 0
	s_waitcnt vmcnt(3)
	v_subrev_u32_e32 v10, s52, v9
	v_ashrrev_i32_e32 v11, 31, v10
	v_lshl_add_u64 v[10:11], v[10:11], 3, s[14:15]
	global_load_dwordx2 v[10:11], v[10:11], off
	s_waitcnt vmcnt(2)
	v_cmp_lt_i32_e32 vcc, v17, v16
	v_subrev_u32_e32 v9, s52, v16
	v_subrev_u32_e32 v20, s52, v17
	s_and_b64 s[4:5], s[2:3], vcc
	v_mov_b32_e32 v16, v30
	s_and_saveexec_b64 s[42:43], s[4:5]
	s_cbranch_execz .LBB22_15
; %bb.10:                               ;   in Loop: Header=BB22_9 Depth=2
	v_mov_b64_e32 v[14:15], 0
	s_mov_b64 s[44:45], 0
	v_mov_b32_e32 v16, v30
	s_branch .LBB22_12
.LBB22_11:                              ;   in Loop: Header=BB22_12 Depth=3
	s_or_b64 exec, exec, s[4:5]
	v_cmp_le_i32_e32 vcc, v18, v19
	s_nop 1
	v_addc_co_u32_e32 v16, vcc, 0, v16, vcc
	v_cmp_ge_i32_e32 vcc, v18, v19
	s_nop 1
	v_addc_co_u32_e32 v20, vcc, 0, v20, vcc
	v_cmp_ge_i32_e32 vcc, v16, v29
	v_cmp_ge_i32_e64 s[4:5], v20, v9
	s_or_b64 s[4:5], vcc, s[4:5]
	s_and_b64 s[4:5], exec, s[4:5]
	s_or_b64 s[44:45], s[4:5], s[44:45]
	s_andn2_b64 exec, exec, s[44:45]
	s_cbranch_execz .LBB22_14
.LBB22_12:                              ;   Parent Loop BB22_5 Depth=1
                                        ;     Parent Loop BB22_9 Depth=2
                                        ; =>    This Inner Loop Header: Depth=3
	v_ashrrev_i32_e32 v17, 31, v16
	v_ashrrev_i32_e32 v21, 31, v20
	v_lshl_add_u64 v[18:19], v[16:17], 2, s[20:21]
	v_lshl_add_u64 v[22:23], v[20:21], 2, s[10:11]
	global_load_dword v18, v[18:19], off
	s_nop 0
	global_load_dword v19, v[22:23], off
	s_waitcnt vmcnt(0)
	v_cmp_eq_u32_e32 vcc, v18, v19
	s_and_saveexec_b64 s[4:5], vcc
	s_cbranch_execz .LBB22_11
; %bb.13:                               ;   in Loop: Header=BB22_12 Depth=3
	v_lshl_add_u64 v[22:23], v[20:21], 2, s[12:13]
	global_load_dword v22, v[22:23], off
	v_lshl_add_u64 v[24:25], v[16:17], 3, s[14:15]
	global_load_dwordx2 v[24:25], v[24:25], off
	s_waitcnt vmcnt(1)
	v_ashrrev_i32_e32 v23, 31, v22
	v_lshl_add_u64 v[22:23], v[22:23], 3, s[14:15]
	global_load_dwordx2 v[22:23], v[22:23], off
	s_waitcnt vmcnt(0)
	v_fmac_f64_e32 v[14:15], v[24:25], v[22:23]
	s_branch .LBB22_11
.LBB22_14:                              ;   in Loop: Header=BB22_9 Depth=2
	s_or_b64 exec, exec, s[44:45]
.LBB22_15:                              ;   in Loop: Header=BB22_9 Depth=2
	s_or_b64 exec, exec, s[42:43]
	s_waitcnt vmcnt(1)
	v_add_f64 v[18:19], v[14:15], -v[12:13]
	v_cmp_lt_i32_e32 vcc, v20, v9
	s_and_saveexec_b64 s[4:5], vcc
	s_cbranch_execz .LBB22_23
; %bb.16:                               ;   in Loop: Header=BB22_9 Depth=2
	v_ashrrev_i32_e32 v21, 31, v20
	v_lshl_add_u64 v[22:23], v[20:21], 2, s[10:11]
	s_mov_b64 s[42:43], 0
                                        ; implicit-def: $sgpr44_sgpr45
                                        ; implicit-def: $sgpr48_sgpr49
                                        ; implicit-def: $sgpr46_sgpr47
	s_branch .LBB22_18
.LBB22_17:                              ;   in Loop: Header=BB22_18 Depth=3
	s_or_b64 exec, exec, s[50:51]
	s_and_b64 s[50:51], exec, s[48:49]
	s_or_b64 s[42:43], s[50:51], s[42:43]
	s_andn2_b64 s[44:45], s[44:45], exec
	s_and_b64 s[50:51], s[46:47], exec
	s_or_b64 s[44:45], s[44:45], s[50:51]
	s_andn2_b64 exec, exec, s[42:43]
	s_cbranch_execz .LBB22_20
.LBB22_18:                              ;   Parent Loop BB22_5 Depth=1
                                        ;     Parent Loop BB22_9 Depth=2
                                        ; =>    This Inner Loop Header: Depth=3
	global_load_dword v17, v[22:23], off
	v_mov_b64_e32 v[24:25], v[20:21]
	s_or_b64 s[46:47], s[46:47], exec
	s_or_b64 s[48:49], s[48:49], exec
                                        ; implicit-def: $vgpr20_vgpr21
	s_waitcnt vmcnt(0)
	v_subrev_u32_e32 v17, s52, v17
	v_cmp_ne_u32_e32 vcc, v17, v4
	s_and_saveexec_b64 s[50:51], vcc
	s_cbranch_execz .LBB22_17
; %bb.19:                               ;   in Loop: Header=BB22_18 Depth=3
	v_lshl_add_u64 v[20:21], v[24:25], 0, 1
	v_cmp_ge_i32_e32 vcc, v20, v9
	s_andn2_b64 s[48:49], s[48:49], exec
	s_and_b64 s[56:57], vcc, exec
	v_lshl_add_u64 v[22:23], v[22:23], 0, 4
	s_andn2_b64 s[46:47], s[46:47], exec
	s_or_b64 s[48:49], s[48:49], s[56:57]
	s_branch .LBB22_17
.LBB22_20:                              ;   in Loop: Header=BB22_9 Depth=2
	s_or_b64 exec, exec, s[42:43]
	s_and_saveexec_b64 s[42:43], s[44:45]
	s_xor_b64 s[42:43], exec, s[42:43]
	s_cbranch_execz .LBB22_22
; %bb.21:                               ;   in Loop: Header=BB22_9 Depth=2
	v_lshl_add_u64 v[20:21], v[24:25], 2, s[12:13]
	global_load_dword v20, v[20:21], off
	s_waitcnt vmcnt(0)
	v_ashrrev_i32_e32 v21, 31, v20
	v_lshl_add_u64 v[20:21], v[20:21], 3, s[14:15]
	global_load_dwordx2 v[20:21], v[20:21], off
	s_waitcnt vmcnt(0)
	v_add_f64 v[18:19], v[18:19], v[20:21]
.LBB22_22:                              ;   in Loop: Header=BB22_9 Depth=2
	s_or_b64 exec, exec, s[42:43]
.LBB22_23:                              ;   in Loop: Header=BB22_9 Depth=2
	s_or_b64 exec, exec, s[4:5]
	v_cmp_lt_i32_e32 vcc, v16, v29
	s_and_saveexec_b64 s[4:5], vcc
	s_cbranch_execz .LBB22_31
; %bb.24:                               ;   in Loop: Header=BB22_9 Depth=2
	v_ashrrev_i32_e32 v17, 31, v16
	v_lshl_add_u64 v[20:21], v[16:17], 2, s[20:21]
	s_mov_b64 s[42:43], 0
                                        ; implicit-def: $sgpr44_sgpr45
                                        ; implicit-def: $sgpr48_sgpr49
                                        ; implicit-def: $sgpr46_sgpr47
	s_branch .LBB22_26
.LBB22_25:                              ;   in Loop: Header=BB22_26 Depth=3
	s_or_b64 exec, exec, s[50:51]
	s_and_b64 s[50:51], exec, s[48:49]
	s_or_b64 s[42:43], s[50:51], s[42:43]
	s_andn2_b64 s[44:45], s[44:45], exec
	s_and_b64 s[50:51], s[46:47], exec
	s_or_b64 s[44:45], s[44:45], s[50:51]
	s_andn2_b64 exec, exec, s[42:43]
	s_cbranch_execz .LBB22_28
.LBB22_26:                              ;   Parent Loop BB22_5 Depth=1
                                        ;     Parent Loop BB22_9 Depth=2
                                        ; =>    This Inner Loop Header: Depth=3
	global_load_dword v9, v[20:21], off
	v_mov_b64_e32 v[22:23], v[16:17]
	s_or_b64 s[46:47], s[46:47], exec
	s_or_b64 s[48:49], s[48:49], exec
                                        ; implicit-def: $vgpr16_vgpr17
	s_waitcnt vmcnt(0)
	v_cmp_ne_u32_e32 vcc, v9, v31
	s_and_saveexec_b64 s[50:51], vcc
	s_cbranch_execz .LBB22_25
; %bb.27:                               ;   in Loop: Header=BB22_26 Depth=3
	v_lshl_add_u64 v[16:17], v[22:23], 0, 1
	v_cmp_ge_i32_e32 vcc, v16, v29
	s_andn2_b64 s[48:49], s[48:49], exec
	s_and_b64 s[56:57], vcc, exec
	v_lshl_add_u64 v[20:21], v[20:21], 0, 4
	s_andn2_b64 s[46:47], s[46:47], exec
	s_or_b64 s[48:49], s[48:49], s[56:57]
	s_branch .LBB22_25
.LBB22_28:                              ;   in Loop: Header=BB22_9 Depth=2
	s_or_b64 exec, exec, s[42:43]
	s_and_saveexec_b64 s[42:43], s[44:45]
	s_xor_b64 s[42:43], exec, s[42:43]
	s_cbranch_execz .LBB22_30
; %bb.29:                               ;   in Loop: Header=BB22_9 Depth=2
	v_lshl_add_u64 v[16:17], v[22:23], 3, s[14:15]
	global_load_dwordx2 v[16:17], v[16:17], off
	s_waitcnt vmcnt(0)
	v_fmac_f64_e32 v[18:19], v[16:17], v[10:11]
.LBB22_30:                              ;   in Loop: Header=BB22_9 Depth=2
	s_or_b64 exec, exec, s[42:43]
.LBB22_31:                              ;   in Loop: Header=BB22_9 Depth=2
	s_or_b64 exec, exec, s[4:5]
	v_add_f64 v[12:13], v[12:13], -v[14:15]
	s_waitcnt vmcnt(0)
	v_div_scale_f64 v[14:15], s[4:5], v[10:11], v[10:11], v[12:13]
	v_rcp_f64_e32 v[16:17], v[14:15]
	v_div_scale_f64 v[20:21], vcc, v[12:13], v[10:11], v[12:13]
	v_fma_f64 v[22:23], -v[14:15], v[16:17], 1.0
	v_fmac_f64_e32 v[16:17], v[16:17], v[22:23]
	v_fma_f64 v[22:23], -v[14:15], v[16:17], 1.0
	v_fmac_f64_e32 v[16:17], v[16:17], v[22:23]
	v_mul_f64 v[22:23], v[20:21], v[16:17]
	v_fma_f64 v[14:15], -v[14:15], v[22:23], v[20:21]
	v_div_fmas_f64 v[14:15], v[14:15], v[16:17], v[22:23]
	v_div_fixup_f64 v[14:15], v[14:15], v[10:11], v[12:13]
	v_cmp_gt_i32_e32 vcc, v4, v8
	s_nop 1
	v_cndmask_b32_e32 v13, v13, v15, vcc
	v_cndmask_b32_e32 v12, v12, v14, vcc
	v_cmp_class_f64_e64 s[42:43], v[12:13], s54
	s_and_saveexec_b64 s[4:5], s[42:43]
	s_cbranch_execz .LBB22_8
; %bb.32:                               ;   in Loop: Header=BB22_9 Depth=2
	v_lshl_add_u64 v[14:15], v[6:7], 3, s[14:15]
	global_store_dwordx2 v[14:15], v[12:13], off
	s_branch .LBB22_8
.LBB22_33:
	s_or_b64 exec, exec, s[6:7]
	v_mov_b32_dpp v4, v2 row_shr:1 row_mask:0xf bank_mask:0xf
	v_mov_b32_dpp v5, v3 row_shr:1 row_mask:0xf bank_mask:0xf
	v_cmp_lt_f64_e32 vcc, v[2:3], v[4:5]
	s_nop 1
	v_cndmask_b32_e32 v3, v3, v5, vcc
	v_cndmask_b32_e32 v2, v2, v4, vcc
	v_cmp_eq_u32_e32 vcc, 3, v26
	v_mov_b32_dpp v6, v3 row_shr:2 row_mask:0xf bank_mask:0xf
	v_mov_b32_dpp v4, v2 row_shr:2 row_mask:0xf bank_mask:0xf
	s_and_saveexec_b64 s[2:3], vcc
	s_cbranch_execz .LBB22_35
; %bb.34:
	v_mov_b32_e32 v5, v6
	v_cmp_lt_f64_e32 vcc, v[2:3], v[4:5]
	v_lshlrev_b32_e32 v1, 3, v1
	s_nop 0
	v_cndmask_b32_e32 v3, v3, v6, vcc
	v_cndmask_b32_e32 v2, v2, v4, vcc
	ds_write_b64 v1, v[2:3]
.LBB22_35:
	s_or_b64 exec, exec, s[2:3]
	s_movk_i32 s2, 0x80
	v_cmp_gt_u32_e32 vcc, s2, v0
	v_lshlrev_b32_e32 v1, 3, v0
	s_waitcnt lgkmcnt(0)
	s_barrier
	s_and_saveexec_b64 s[2:3], vcc
	s_cbranch_execz .LBB22_37
; %bb.36:
	ds_read2st64_b64 v[2:5], v1 offset1:2
	s_waitcnt lgkmcnt(0)
	v_cmp_lt_f64_e32 vcc, v[2:3], v[4:5]
	s_nop 1
	v_cndmask_b32_e32 v3, v3, v5, vcc
	v_cndmask_b32_e32 v2, v2, v4, vcc
	ds_write_b64 v1, v[2:3]
.LBB22_37:
	s_or_b64 exec, exec, s[2:3]
	v_cmp_gt_u32_e32 vcc, 64, v0
	s_waitcnt lgkmcnt(0)
	s_barrier
	s_and_saveexec_b64 s[2:3], vcc
	s_cbranch_execz .LBB22_39
; %bb.38:
	ds_read2st64_b64 v[2:5], v1 offset1:1
	s_waitcnt lgkmcnt(0)
	v_cmp_lt_f64_e32 vcc, v[2:3], v[4:5]
	s_nop 1
	v_cndmask_b32_e32 v3, v3, v5, vcc
	v_cndmask_b32_e32 v2, v2, v4, vcc
	ds_write_b64 v1, v[2:3]
.LBB22_39:
	s_or_b64 exec, exec, s[2:3]
	v_cmp_gt_u32_e32 vcc, 32, v0
	s_waitcnt lgkmcnt(0)
	s_barrier
	s_and_saveexec_b64 s[2:3], vcc
	s_cbranch_execz .LBB22_41
; %bb.40:
	ds_read2_b64 v[2:5], v1 offset1:32
	s_waitcnt lgkmcnt(0)
	v_cmp_lt_f64_e32 vcc, v[2:3], v[4:5]
	s_nop 1
	v_cndmask_b32_e32 v3, v3, v5, vcc
	v_cndmask_b32_e32 v2, v2, v4, vcc
	ds_write_b64 v1, v[2:3]
.LBB22_41:
	s_or_b64 exec, exec, s[2:3]
	v_cmp_gt_u32_e32 vcc, 16, v0
	s_waitcnt lgkmcnt(0)
	s_barrier
	s_and_saveexec_b64 s[2:3], vcc
	s_cbranch_execz .LBB22_43
; %bb.42:
	ds_read2_b64 v[2:5], v1 offset1:16
	s_waitcnt lgkmcnt(0)
	v_cmp_lt_f64_e32 vcc, v[2:3], v[4:5]
	s_nop 1
	v_cndmask_b32_e32 v3, v3, v5, vcc
	v_cndmask_b32_e32 v2, v2, v4, vcc
	ds_write_b64 v1, v[2:3]
.LBB22_43:
	;; [unrolled: 15-line block ×5, first 2 shown]
	s_or_b64 exec, exec, s[2:3]
	v_cmp_eq_u32_e32 vcc, 0, v0
	s_waitcnt lgkmcnt(0)
	s_barrier
	s_and_saveexec_b64 s[4:5], vcc
	s_cbranch_execz .LBB22_51
; %bb.50:
	v_mov_b32_e32 v4, 0
	ds_read_b128 v[0:3], v4
	s_waitcnt lgkmcnt(0)
	v_cmp_lt_f64_e64 s[2:3], v[0:1], v[2:3]
	s_nop 1
	v_cndmask_b32_e64 v1, v1, v3, s[2:3]
	v_cndmask_b32_e64 v0, v0, v2, s[2:3]
	ds_write_b64 v4, v[0:1]
.LBB22_51:
	s_or_b64 exec, exec, s[4:5]
	s_waitcnt lgkmcnt(0)
	s_barrier
	s_and_saveexec_b64 s[2:3], vcc
	s_cbranch_execz .LBB22_54
; %bb.52:
	v_mbcnt_lo_u32_b32 v0, exec_lo, 0
	v_mbcnt_hi_u32_b32 v0, exec_hi, v0
	v_cmp_eq_u32_e32 vcc, 0, v0
	s_and_b64 exec, exec, vcc
	s_cbranch_execz .LBB22_54
; %bb.53:
	s_load_dwordx4 s[0:3], s[0:1], 0x70
	v_mov_b32_e32 v10, 0
	ds_read_b64 v[0:1], v10
	s_waitcnt lgkmcnt(0)
	s_load_dwordx2 s[2:3], s[2:3], 0x0
	s_waitcnt lgkmcnt(0)
	v_div_scale_f64 v[2:3], s[4:5], s[2:3], s[2:3], v[0:1]
	v_rcp_f64_e32 v[4:5], v[2:3]
	v_div_scale_f64 v[6:7], vcc, v[0:1], s[2:3], v[0:1]
	v_fma_f64 v[8:9], -v[2:3], v[4:5], 1.0
	v_fmac_f64_e32 v[4:5], v[4:5], v[8:9]
	v_fma_f64 v[8:9], -v[2:3], v[4:5], 1.0
	v_fmac_f64_e32 v[4:5], v[4:5], v[8:9]
	v_mul_f64 v[8:9], v[6:7], v[4:5]
	v_fma_f64 v[2:3], -v[2:3], v[8:9], v[6:7]
	v_div_fmas_f64 v[2:3], v[2:3], v[4:5], v[8:9]
	v_div_fixup_f64 v[0:1], v[2:3], s[2:3], v[0:1]
	global_atomic_max_f64 v10, v[0:1], s[0:1]
.LBB22_54:
	s_endpgm
	.section	.rodata,"a",@progbits
	.p2align	6, 0x0
	.amdhsa_kernel _ZN9rocsparseL16kernel_calculateILi1024ELi4ELb1EdiiEEvT4_T3_PKS2_S4_PKS1_PKT2_21rocsparse_index_base_S4_S4_S6_S4_S4_S6_S4_PS7_PNS_15floating_traitsIS7_E6data_tEPKSE_
		.amdhsa_group_segment_fixed_size 2048
		.amdhsa_private_segment_fixed_size 0
		.amdhsa_kernarg_size 128
		.amdhsa_user_sgpr_count 2
		.amdhsa_user_sgpr_dispatch_ptr 0
		.amdhsa_user_sgpr_queue_ptr 0
		.amdhsa_user_sgpr_kernarg_segment_ptr 1
		.amdhsa_user_sgpr_dispatch_id 0
		.amdhsa_user_sgpr_kernarg_preload_length 0
		.amdhsa_user_sgpr_kernarg_preload_offset 0
		.amdhsa_user_sgpr_private_segment_size 0
		.amdhsa_uses_dynamic_stack 0
		.amdhsa_enable_private_segment 0
		.amdhsa_system_sgpr_workgroup_id_x 1
		.amdhsa_system_sgpr_workgroup_id_y 0
		.amdhsa_system_sgpr_workgroup_id_z 0
		.amdhsa_system_sgpr_workgroup_info 0
		.amdhsa_system_vgpr_workitem_id 0
		.amdhsa_next_free_vgpr 32
		.amdhsa_next_free_sgpr 58
		.amdhsa_accum_offset 32
		.amdhsa_reserve_vcc 1
		.amdhsa_float_round_mode_32 0
		.amdhsa_float_round_mode_16_64 0
		.amdhsa_float_denorm_mode_32 3
		.amdhsa_float_denorm_mode_16_64 3
		.amdhsa_dx10_clamp 1
		.amdhsa_ieee_mode 1
		.amdhsa_fp16_overflow 0
		.amdhsa_tg_split 0
		.amdhsa_exception_fp_ieee_invalid_op 0
		.amdhsa_exception_fp_denorm_src 0
		.amdhsa_exception_fp_ieee_div_zero 0
		.amdhsa_exception_fp_ieee_overflow 0
		.amdhsa_exception_fp_ieee_underflow 0
		.amdhsa_exception_fp_ieee_inexact 0
		.amdhsa_exception_int_div_zero 0
	.end_amdhsa_kernel
	.section	.text._ZN9rocsparseL16kernel_calculateILi1024ELi4ELb1EdiiEEvT4_T3_PKS2_S4_PKS1_PKT2_21rocsparse_index_base_S4_S4_S6_S4_S4_S6_S4_PS7_PNS_15floating_traitsIS7_E6data_tEPKSE_,"axG",@progbits,_ZN9rocsparseL16kernel_calculateILi1024ELi4ELb1EdiiEEvT4_T3_PKS2_S4_PKS1_PKT2_21rocsparse_index_base_S4_S4_S6_S4_S4_S6_S4_PS7_PNS_15floating_traitsIS7_E6data_tEPKSE_,comdat
.Lfunc_end22:
	.size	_ZN9rocsparseL16kernel_calculateILi1024ELi4ELb1EdiiEEvT4_T3_PKS2_S4_PKS1_PKT2_21rocsparse_index_base_S4_S4_S6_S4_S4_S6_S4_PS7_PNS_15floating_traitsIS7_E6data_tEPKSE_, .Lfunc_end22-_ZN9rocsparseL16kernel_calculateILi1024ELi4ELb1EdiiEEvT4_T3_PKS2_S4_PKS1_PKT2_21rocsparse_index_base_S4_S4_S6_S4_S4_S6_S4_PS7_PNS_15floating_traitsIS7_E6data_tEPKSE_
                                        ; -- End function
	.set _ZN9rocsparseL16kernel_calculateILi1024ELi4ELb1EdiiEEvT4_T3_PKS2_S4_PKS1_PKT2_21rocsparse_index_base_S4_S4_S6_S4_S4_S6_S4_PS7_PNS_15floating_traitsIS7_E6data_tEPKSE_.num_vgpr, 32
	.set _ZN9rocsparseL16kernel_calculateILi1024ELi4ELb1EdiiEEvT4_T3_PKS2_S4_PKS1_PKT2_21rocsparse_index_base_S4_S4_S6_S4_S4_S6_S4_PS7_PNS_15floating_traitsIS7_E6data_tEPKSE_.num_agpr, 0
	.set _ZN9rocsparseL16kernel_calculateILi1024ELi4ELb1EdiiEEvT4_T3_PKS2_S4_PKS1_PKT2_21rocsparse_index_base_S4_S4_S6_S4_S4_S6_S4_PS7_PNS_15floating_traitsIS7_E6data_tEPKSE_.numbered_sgpr, 58
	.set _ZN9rocsparseL16kernel_calculateILi1024ELi4ELb1EdiiEEvT4_T3_PKS2_S4_PKS1_PKT2_21rocsparse_index_base_S4_S4_S6_S4_S4_S6_S4_PS7_PNS_15floating_traitsIS7_E6data_tEPKSE_.num_named_barrier, 0
	.set _ZN9rocsparseL16kernel_calculateILi1024ELi4ELb1EdiiEEvT4_T3_PKS2_S4_PKS1_PKT2_21rocsparse_index_base_S4_S4_S6_S4_S4_S6_S4_PS7_PNS_15floating_traitsIS7_E6data_tEPKSE_.private_seg_size, 0
	.set _ZN9rocsparseL16kernel_calculateILi1024ELi4ELb1EdiiEEvT4_T3_PKS2_S4_PKS1_PKT2_21rocsparse_index_base_S4_S4_S6_S4_S4_S6_S4_PS7_PNS_15floating_traitsIS7_E6data_tEPKSE_.uses_vcc, 1
	.set _ZN9rocsparseL16kernel_calculateILi1024ELi4ELb1EdiiEEvT4_T3_PKS2_S4_PKS1_PKT2_21rocsparse_index_base_S4_S4_S6_S4_S4_S6_S4_PS7_PNS_15floating_traitsIS7_E6data_tEPKSE_.uses_flat_scratch, 0
	.set _ZN9rocsparseL16kernel_calculateILi1024ELi4ELb1EdiiEEvT4_T3_PKS2_S4_PKS1_PKT2_21rocsparse_index_base_S4_S4_S6_S4_S4_S6_S4_PS7_PNS_15floating_traitsIS7_E6data_tEPKSE_.has_dyn_sized_stack, 0
	.set _ZN9rocsparseL16kernel_calculateILi1024ELi4ELb1EdiiEEvT4_T3_PKS2_S4_PKS1_PKT2_21rocsparse_index_base_S4_S4_S6_S4_S4_S6_S4_PS7_PNS_15floating_traitsIS7_E6data_tEPKSE_.has_recursion, 0
	.set _ZN9rocsparseL16kernel_calculateILi1024ELi4ELb1EdiiEEvT4_T3_PKS2_S4_PKS1_PKT2_21rocsparse_index_base_S4_S4_S6_S4_S4_S6_S4_PS7_PNS_15floating_traitsIS7_E6data_tEPKSE_.has_indirect_call, 0
	.section	.AMDGPU.csdata,"",@progbits
; Kernel info:
; codeLenInByte = 2096
; TotalNumSgprs: 64
; NumVgprs: 32
; NumAgprs: 0
; TotalNumVgprs: 32
; ScratchSize: 0
; MemoryBound: 1
; FloatMode: 240
; IeeeMode: 1
; LDSByteSize: 2048 bytes/workgroup (compile time only)
; SGPRBlocks: 7
; VGPRBlocks: 3
; NumSGPRsForWavesPerEU: 64
; NumVGPRsForWavesPerEU: 32
; AccumOffset: 32
; Occupancy: 8
; WaveLimiterHint : 1
; COMPUTE_PGM_RSRC2:SCRATCH_EN: 0
; COMPUTE_PGM_RSRC2:USER_SGPR: 2
; COMPUTE_PGM_RSRC2:TRAP_HANDLER: 0
; COMPUTE_PGM_RSRC2:TGID_X_EN: 1
; COMPUTE_PGM_RSRC2:TGID_Y_EN: 0
; COMPUTE_PGM_RSRC2:TGID_Z_EN: 0
; COMPUTE_PGM_RSRC2:TIDIG_COMP_CNT: 0
; COMPUTE_PGM_RSRC3_GFX90A:ACCUM_OFFSET: 7
; COMPUTE_PGM_RSRC3_GFX90A:TG_SPLIT: 0
	.section	.text._ZN9rocsparseL16kernel_calculateILi1024ELi8ELb1EdiiEEvT4_T3_PKS2_S4_PKS1_PKT2_21rocsparse_index_base_S4_S4_S6_S4_S4_S6_S4_PS7_PNS_15floating_traitsIS7_E6data_tEPKSE_,"axG",@progbits,_ZN9rocsparseL16kernel_calculateILi1024ELi8ELb1EdiiEEvT4_T3_PKS2_S4_PKS1_PKT2_21rocsparse_index_base_S4_S4_S6_S4_S4_S6_S4_PS7_PNS_15floating_traitsIS7_E6data_tEPKSE_,comdat
	.globl	_ZN9rocsparseL16kernel_calculateILi1024ELi8ELb1EdiiEEvT4_T3_PKS2_S4_PKS1_PKT2_21rocsparse_index_base_S4_S4_S6_S4_S4_S6_S4_PS7_PNS_15floating_traitsIS7_E6data_tEPKSE_ ; -- Begin function _ZN9rocsparseL16kernel_calculateILi1024ELi8ELb1EdiiEEvT4_T3_PKS2_S4_PKS1_PKT2_21rocsparse_index_base_S4_S4_S6_S4_S4_S6_S4_PS7_PNS_15floating_traitsIS7_E6data_tEPKSE_
	.p2align	8
	.type	_ZN9rocsparseL16kernel_calculateILi1024ELi8ELb1EdiiEEvT4_T3_PKS2_S4_PKS1_PKT2_21rocsparse_index_base_S4_S4_S6_S4_S4_S6_S4_PS7_PNS_15floating_traitsIS7_E6data_tEPKSE_,@function
_ZN9rocsparseL16kernel_calculateILi1024ELi8ELb1EdiiEEvT4_T3_PKS2_S4_PKS1_PKT2_21rocsparse_index_base_S4_S4_S6_S4_S4_S6_S4_PS7_PNS_15floating_traitsIS7_E6data_tEPKSE_: ; @_ZN9rocsparseL16kernel_calculateILi1024ELi8ELb1EdiiEEvT4_T3_PKS2_S4_PKS1_PKT2_21rocsparse_index_base_S4_S4_S6_S4_S4_S6_S4_PS7_PNS_15floating_traitsIS7_E6data_tEPKSE_
; %bb.0:
	s_load_dword s33, s[0:1], 0x0
	v_lshrrev_b32_e32 v1, 3, v0
	v_lshl_or_b32 v27, s2, 10, v1
	v_and_b32_e32 v26, 7, v0
	v_mov_b64_e32 v[2:3], 0
	s_waitcnt lgkmcnt(0)
	v_cmp_gt_i32_e32 vcc, s33, v27
	s_and_saveexec_b64 s[6:7], vcc
	s_cbranch_execz .LBB23_33
; %bb.1:
	s_load_dword s52, s[0:1], 0x28
	s_load_dwordx8 s[8:15], s[0:1], 0x50
	s_load_dwordx8 s[16:23], s[0:1], 0x30
	;; [unrolled: 1-line block ×3, first 2 shown]
	s_mov_b32 s34, 0
	v_mov_b64_e32 v[2:3], 0
	s_waitcnt lgkmcnt(0)
	v_subrev_u32_e32 v28, s52, v26
	s_mov_b32 s53, 0
	s_movk_i32 s54, 0x1f8
	s_mov_b32 s35, 0x7ff00000
	s_branch .LBB23_5
.LBB23_2:                               ;   in Loop: Header=BB23_5 Depth=1
	s_or_b64 exec, exec, s[40:41]
.LBB23_3:                               ;   in Loop: Header=BB23_5 Depth=1
	s_or_b64 exec, exec, s[38:39]
.LBB23_4:                               ;   in Loop: Header=BB23_5 Depth=1
	s_or_b64 exec, exec, s[36:37]
	s_add_i32 s53, s53, 1
	s_cmp_lg_u32 s53, 8
	s_cbranch_scc0 .LBB23_33
.LBB23_5:                               ; =>This Loop Header: Depth=1
                                        ;     Child Loop BB23_9 Depth 2
                                        ;       Child Loop BB23_12 Depth 3
                                        ;       Child Loop BB23_18 Depth 3
	;; [unrolled: 1-line block ×3, first 2 shown]
	v_lshl_add_u32 v4, s53, 7, v27
	v_cmp_gt_i32_e32 vcc, s33, v4
	s_and_saveexec_b64 s[36:37], vcc
	s_cbranch_execz .LBB23_4
; %bb.6:                                ;   in Loop: Header=BB23_5 Depth=1
	v_ashrrev_i32_e32 v5, 31, v4
	v_lshlrev_b64 v[8:9], 2, v[4:5]
	v_lshl_add_u64 v[6:7], s[26:27], 0, v[8:9]
	global_load_dword v5, v[6:7], off
	v_lshl_add_u64 v[6:7], s[24:25], 0, v[8:9]
	global_load_dword v6, v[6:7], off
	s_waitcnt vmcnt(1)
	v_subrev_u32_e32 v5, s52, v5
	s_waitcnt vmcnt(0)
	v_add_u32_e32 v6, v28, v6
	v_cmp_lt_i32_e32 vcc, v6, v5
	s_and_saveexec_b64 s[38:39], vcc
	s_cbranch_execz .LBB23_3
; %bb.7:                                ;   in Loop: Header=BB23_5 Depth=1
	v_lshl_add_u64 v[10:11], s[18:19], 0, v[8:9]
	v_lshl_add_u64 v[8:9], s[16:17], 0, v[8:9]
	global_load_dword v7, v[10:11], off
	s_mov_b64 s[40:41], 0
	global_load_dword v8, v[8:9], off
	s_waitcnt vmcnt(1)
	v_subrev_u32_e32 v29, s52, v7
	s_waitcnt vmcnt(0)
	v_subrev_u32_e32 v30, s52, v8
	v_cmp_lt_i32_e64 s[2:3], v8, v7
	s_branch .LBB23_9
.LBB23_8:                               ;   in Loop: Header=BB23_9 Depth=2
	s_or_b64 exec, exec, s[4:5]
	v_add_f64 v[10:11], v[10:11], v[18:19]
	v_cmp_eq_u32_e32 vcc, v4, v8
	v_add_u32_e32 v6, 8, v6
	s_nop 0
	v_cndmask_b32_e32 v9, v19, v11, vcc
	v_cndmask_b32_e32 v8, v18, v10, vcc
	v_cmp_nlg_f64_e64 s[4:5], |v[8:9]|, s[34:35]
	v_cmp_gt_f64_e64 s[42:43], v[2:3], |v[8:9]|
	v_and_b32_e32 v7, 0x7fffffff, v9
	s_or_b64 vcc, s[4:5], s[42:43]
	v_cmp_ge_i32_e64 s[4:5], v6, v5
	v_cndmask_b32_e32 v3, v7, v3, vcc
	s_or_b64 s[40:41], s[4:5], s[40:41]
	v_cndmask_b32_e32 v2, v8, v2, vcc
	s_andn2_b64 exec, exec, s[40:41]
	s_cbranch_execz .LBB23_2
.LBB23_9:                               ;   Parent Loop BB23_5 Depth=1
                                        ; =>  This Loop Header: Depth=2
                                        ;       Child Loop BB23_12 Depth 3
                                        ;       Child Loop BB23_18 Depth 3
	;; [unrolled: 1-line block ×3, first 2 shown]
	v_ashrrev_i32_e32 v7, 31, v6
	v_lshl_add_u64 v[8:9], v[6:7], 2, s[28:29]
	global_load_dword v31, v[8:9], off
	v_lshl_add_u64 v[14:15], v[6:7], 3, s[30:31]
	s_waitcnt vmcnt(0)
	v_subrev_u32_e32 v8, s52, v31
	v_ashrrev_i32_e32 v9, 31, v8
	v_lshlrev_b64 v[10:11], 2, v[8:9]
	v_lshl_add_u64 v[12:13], s[18:19], 0, v[10:11]
	global_load_dword v9, v[12:13], off
	v_lshl_add_u64 v[12:13], s[8:9], 0, v[10:11]
	v_lshl_add_u64 v[10:11], s[22:23], 0, v[10:11]
	global_load_dword v16, v[12:13], off
	global_load_dword v17, v[10:11], off
	s_nop 0
	global_load_dwordx2 v[12:13], v[14:15], off
	v_mov_b64_e32 v[14:15], 0
	s_waitcnt vmcnt(3)
	v_subrev_u32_e32 v10, s52, v9
	v_ashrrev_i32_e32 v11, 31, v10
	v_lshl_add_u64 v[10:11], v[10:11], 3, s[14:15]
	global_load_dwordx2 v[10:11], v[10:11], off
	s_waitcnt vmcnt(2)
	v_cmp_lt_i32_e32 vcc, v17, v16
	v_subrev_u32_e32 v9, s52, v16
	v_subrev_u32_e32 v20, s52, v17
	s_and_b64 s[4:5], s[2:3], vcc
	v_mov_b32_e32 v16, v30
	s_and_saveexec_b64 s[42:43], s[4:5]
	s_cbranch_execz .LBB23_15
; %bb.10:                               ;   in Loop: Header=BB23_9 Depth=2
	v_mov_b64_e32 v[14:15], 0
	s_mov_b64 s[44:45], 0
	v_mov_b32_e32 v16, v30
	s_branch .LBB23_12
.LBB23_11:                              ;   in Loop: Header=BB23_12 Depth=3
	s_or_b64 exec, exec, s[4:5]
	v_cmp_le_i32_e32 vcc, v18, v19
	s_nop 1
	v_addc_co_u32_e32 v16, vcc, 0, v16, vcc
	v_cmp_ge_i32_e32 vcc, v18, v19
	s_nop 1
	v_addc_co_u32_e32 v20, vcc, 0, v20, vcc
	v_cmp_ge_i32_e32 vcc, v16, v29
	v_cmp_ge_i32_e64 s[4:5], v20, v9
	s_or_b64 s[4:5], vcc, s[4:5]
	s_and_b64 s[4:5], exec, s[4:5]
	s_or_b64 s[44:45], s[4:5], s[44:45]
	s_andn2_b64 exec, exec, s[44:45]
	s_cbranch_execz .LBB23_14
.LBB23_12:                              ;   Parent Loop BB23_5 Depth=1
                                        ;     Parent Loop BB23_9 Depth=2
                                        ; =>    This Inner Loop Header: Depth=3
	v_ashrrev_i32_e32 v17, 31, v16
	v_ashrrev_i32_e32 v21, 31, v20
	v_lshl_add_u64 v[18:19], v[16:17], 2, s[20:21]
	v_lshl_add_u64 v[22:23], v[20:21], 2, s[10:11]
	global_load_dword v18, v[18:19], off
	s_nop 0
	global_load_dword v19, v[22:23], off
	s_waitcnt vmcnt(0)
	v_cmp_eq_u32_e32 vcc, v18, v19
	s_and_saveexec_b64 s[4:5], vcc
	s_cbranch_execz .LBB23_11
; %bb.13:                               ;   in Loop: Header=BB23_12 Depth=3
	v_lshl_add_u64 v[22:23], v[20:21], 2, s[12:13]
	global_load_dword v22, v[22:23], off
	v_lshl_add_u64 v[24:25], v[16:17], 3, s[14:15]
	global_load_dwordx2 v[24:25], v[24:25], off
	s_waitcnt vmcnt(1)
	v_ashrrev_i32_e32 v23, 31, v22
	v_lshl_add_u64 v[22:23], v[22:23], 3, s[14:15]
	global_load_dwordx2 v[22:23], v[22:23], off
	s_waitcnt vmcnt(0)
	v_fmac_f64_e32 v[14:15], v[24:25], v[22:23]
	s_branch .LBB23_11
.LBB23_14:                              ;   in Loop: Header=BB23_9 Depth=2
	s_or_b64 exec, exec, s[44:45]
.LBB23_15:                              ;   in Loop: Header=BB23_9 Depth=2
	s_or_b64 exec, exec, s[42:43]
	s_waitcnt vmcnt(1)
	v_add_f64 v[18:19], v[14:15], -v[12:13]
	v_cmp_lt_i32_e32 vcc, v20, v9
	s_and_saveexec_b64 s[4:5], vcc
	s_cbranch_execz .LBB23_23
; %bb.16:                               ;   in Loop: Header=BB23_9 Depth=2
	v_ashrrev_i32_e32 v21, 31, v20
	v_lshl_add_u64 v[22:23], v[20:21], 2, s[10:11]
	s_mov_b64 s[42:43], 0
                                        ; implicit-def: $sgpr44_sgpr45
                                        ; implicit-def: $sgpr48_sgpr49
                                        ; implicit-def: $sgpr46_sgpr47
	s_branch .LBB23_18
.LBB23_17:                              ;   in Loop: Header=BB23_18 Depth=3
	s_or_b64 exec, exec, s[50:51]
	s_and_b64 s[50:51], exec, s[48:49]
	s_or_b64 s[42:43], s[50:51], s[42:43]
	s_andn2_b64 s[44:45], s[44:45], exec
	s_and_b64 s[50:51], s[46:47], exec
	s_or_b64 s[44:45], s[44:45], s[50:51]
	s_andn2_b64 exec, exec, s[42:43]
	s_cbranch_execz .LBB23_20
.LBB23_18:                              ;   Parent Loop BB23_5 Depth=1
                                        ;     Parent Loop BB23_9 Depth=2
                                        ; =>    This Inner Loop Header: Depth=3
	global_load_dword v17, v[22:23], off
	v_mov_b64_e32 v[24:25], v[20:21]
	s_or_b64 s[46:47], s[46:47], exec
	s_or_b64 s[48:49], s[48:49], exec
                                        ; implicit-def: $vgpr20_vgpr21
	s_waitcnt vmcnt(0)
	v_subrev_u32_e32 v17, s52, v17
	v_cmp_ne_u32_e32 vcc, v17, v4
	s_and_saveexec_b64 s[50:51], vcc
	s_cbranch_execz .LBB23_17
; %bb.19:                               ;   in Loop: Header=BB23_18 Depth=3
	v_lshl_add_u64 v[20:21], v[24:25], 0, 1
	v_cmp_ge_i32_e32 vcc, v20, v9
	s_andn2_b64 s[48:49], s[48:49], exec
	s_and_b64 s[56:57], vcc, exec
	v_lshl_add_u64 v[22:23], v[22:23], 0, 4
	s_andn2_b64 s[46:47], s[46:47], exec
	s_or_b64 s[48:49], s[48:49], s[56:57]
	s_branch .LBB23_17
.LBB23_20:                              ;   in Loop: Header=BB23_9 Depth=2
	s_or_b64 exec, exec, s[42:43]
	s_and_saveexec_b64 s[42:43], s[44:45]
	s_xor_b64 s[42:43], exec, s[42:43]
	s_cbranch_execz .LBB23_22
; %bb.21:                               ;   in Loop: Header=BB23_9 Depth=2
	v_lshl_add_u64 v[20:21], v[24:25], 2, s[12:13]
	global_load_dword v20, v[20:21], off
	s_waitcnt vmcnt(0)
	v_ashrrev_i32_e32 v21, 31, v20
	v_lshl_add_u64 v[20:21], v[20:21], 3, s[14:15]
	global_load_dwordx2 v[20:21], v[20:21], off
	s_waitcnt vmcnt(0)
	v_add_f64 v[18:19], v[18:19], v[20:21]
.LBB23_22:                              ;   in Loop: Header=BB23_9 Depth=2
	s_or_b64 exec, exec, s[42:43]
.LBB23_23:                              ;   in Loop: Header=BB23_9 Depth=2
	s_or_b64 exec, exec, s[4:5]
	v_cmp_lt_i32_e32 vcc, v16, v29
	s_and_saveexec_b64 s[4:5], vcc
	s_cbranch_execz .LBB23_31
; %bb.24:                               ;   in Loop: Header=BB23_9 Depth=2
	v_ashrrev_i32_e32 v17, 31, v16
	v_lshl_add_u64 v[20:21], v[16:17], 2, s[20:21]
	s_mov_b64 s[42:43], 0
                                        ; implicit-def: $sgpr44_sgpr45
                                        ; implicit-def: $sgpr48_sgpr49
                                        ; implicit-def: $sgpr46_sgpr47
	s_branch .LBB23_26
.LBB23_25:                              ;   in Loop: Header=BB23_26 Depth=3
	s_or_b64 exec, exec, s[50:51]
	s_and_b64 s[50:51], exec, s[48:49]
	s_or_b64 s[42:43], s[50:51], s[42:43]
	s_andn2_b64 s[44:45], s[44:45], exec
	s_and_b64 s[50:51], s[46:47], exec
	s_or_b64 s[44:45], s[44:45], s[50:51]
	s_andn2_b64 exec, exec, s[42:43]
	s_cbranch_execz .LBB23_28
.LBB23_26:                              ;   Parent Loop BB23_5 Depth=1
                                        ;     Parent Loop BB23_9 Depth=2
                                        ; =>    This Inner Loop Header: Depth=3
	global_load_dword v9, v[20:21], off
	v_mov_b64_e32 v[22:23], v[16:17]
	s_or_b64 s[46:47], s[46:47], exec
	s_or_b64 s[48:49], s[48:49], exec
                                        ; implicit-def: $vgpr16_vgpr17
	s_waitcnt vmcnt(0)
	v_cmp_ne_u32_e32 vcc, v9, v31
	s_and_saveexec_b64 s[50:51], vcc
	s_cbranch_execz .LBB23_25
; %bb.27:                               ;   in Loop: Header=BB23_26 Depth=3
	v_lshl_add_u64 v[16:17], v[22:23], 0, 1
	v_cmp_ge_i32_e32 vcc, v16, v29
	s_andn2_b64 s[48:49], s[48:49], exec
	s_and_b64 s[56:57], vcc, exec
	v_lshl_add_u64 v[20:21], v[20:21], 0, 4
	s_andn2_b64 s[46:47], s[46:47], exec
	s_or_b64 s[48:49], s[48:49], s[56:57]
	s_branch .LBB23_25
.LBB23_28:                              ;   in Loop: Header=BB23_9 Depth=2
	s_or_b64 exec, exec, s[42:43]
	s_and_saveexec_b64 s[42:43], s[44:45]
	s_xor_b64 s[42:43], exec, s[42:43]
	s_cbranch_execz .LBB23_30
; %bb.29:                               ;   in Loop: Header=BB23_9 Depth=2
	v_lshl_add_u64 v[16:17], v[22:23], 3, s[14:15]
	global_load_dwordx2 v[16:17], v[16:17], off
	s_waitcnt vmcnt(0)
	v_fmac_f64_e32 v[18:19], v[16:17], v[10:11]
.LBB23_30:                              ;   in Loop: Header=BB23_9 Depth=2
	s_or_b64 exec, exec, s[42:43]
.LBB23_31:                              ;   in Loop: Header=BB23_9 Depth=2
	s_or_b64 exec, exec, s[4:5]
	v_add_f64 v[12:13], v[12:13], -v[14:15]
	s_waitcnt vmcnt(0)
	v_div_scale_f64 v[14:15], s[4:5], v[10:11], v[10:11], v[12:13]
	v_rcp_f64_e32 v[16:17], v[14:15]
	v_div_scale_f64 v[20:21], vcc, v[12:13], v[10:11], v[12:13]
	v_fma_f64 v[22:23], -v[14:15], v[16:17], 1.0
	v_fmac_f64_e32 v[16:17], v[16:17], v[22:23]
	v_fma_f64 v[22:23], -v[14:15], v[16:17], 1.0
	v_fmac_f64_e32 v[16:17], v[16:17], v[22:23]
	v_mul_f64 v[22:23], v[20:21], v[16:17]
	v_fma_f64 v[14:15], -v[14:15], v[22:23], v[20:21]
	v_div_fmas_f64 v[14:15], v[14:15], v[16:17], v[22:23]
	v_div_fixup_f64 v[14:15], v[14:15], v[10:11], v[12:13]
	v_cmp_gt_i32_e32 vcc, v4, v8
	s_nop 1
	v_cndmask_b32_e32 v13, v13, v15, vcc
	v_cndmask_b32_e32 v12, v12, v14, vcc
	v_cmp_class_f64_e64 s[42:43], v[12:13], s54
	s_and_saveexec_b64 s[4:5], s[42:43]
	s_cbranch_execz .LBB23_8
; %bb.32:                               ;   in Loop: Header=BB23_9 Depth=2
	v_lshl_add_u64 v[14:15], v[6:7], 3, s[14:15]
	global_store_dwordx2 v[14:15], v[12:13], off
	s_branch .LBB23_8
.LBB23_33:
	s_or_b64 exec, exec, s[6:7]
	v_mov_b32_dpp v4, v2 row_shr:1 row_mask:0xf bank_mask:0xf
	v_mov_b32_dpp v5, v3 row_shr:1 row_mask:0xf bank_mask:0xf
	v_cmp_lt_f64_e32 vcc, v[2:3], v[4:5]
	s_nop 1
	v_cndmask_b32_e32 v3, v3, v5, vcc
	v_cndmask_b32_e32 v2, v2, v4, vcc
	s_nop 0
	v_mov_b32_dpp v5, v3 row_shr:2 row_mask:0xf bank_mask:0xf
	v_mov_b32_dpp v4, v2 row_shr:2 row_mask:0xf bank_mask:0xf
	v_cmp_lt_f64_e32 vcc, v[2:3], v[4:5]
	s_nop 1
	v_cndmask_b32_e32 v3, v3, v5, vcc
	v_cndmask_b32_e32 v2, v2, v4, vcc
	v_cmp_eq_u32_e32 vcc, 7, v26
	v_mov_b32_dpp v6, v3 row_shr:4 row_mask:0xf bank_mask:0xe
	v_mov_b32_dpp v4, v2 row_shr:4 row_mask:0xf bank_mask:0xe
	s_and_saveexec_b64 s[2:3], vcc
	s_cbranch_execz .LBB23_35
; %bb.34:
	v_mov_b32_e32 v5, v6
	v_cmp_lt_f64_e32 vcc, v[2:3], v[4:5]
	v_lshlrev_b32_e32 v1, 3, v1
	s_nop 0
	v_cndmask_b32_e32 v3, v3, v6, vcc
	v_cndmask_b32_e32 v2, v2, v4, vcc
	ds_write_b64 v1, v[2:3]
.LBB23_35:
	s_or_b64 exec, exec, s[2:3]
	v_cmp_gt_u32_e32 vcc, 64, v0
	v_lshlrev_b32_e32 v1, 3, v0
	s_waitcnt lgkmcnt(0)
	s_barrier
	s_and_saveexec_b64 s[2:3], vcc
	s_cbranch_execz .LBB23_37
; %bb.36:
	ds_read2st64_b64 v[2:5], v1 offset1:1
	s_waitcnt lgkmcnt(0)
	v_cmp_lt_f64_e32 vcc, v[2:3], v[4:5]
	s_nop 1
	v_cndmask_b32_e32 v3, v3, v5, vcc
	v_cndmask_b32_e32 v2, v2, v4, vcc
	ds_write_b64 v1, v[2:3]
.LBB23_37:
	s_or_b64 exec, exec, s[2:3]
	v_cmp_gt_u32_e32 vcc, 32, v0
	s_waitcnt lgkmcnt(0)
	s_barrier
	s_and_saveexec_b64 s[2:3], vcc
	s_cbranch_execz .LBB23_39
; %bb.38:
	ds_read2_b64 v[2:5], v1 offset1:32
	s_waitcnt lgkmcnt(0)
	v_cmp_lt_f64_e32 vcc, v[2:3], v[4:5]
	s_nop 1
	v_cndmask_b32_e32 v3, v3, v5, vcc
	v_cndmask_b32_e32 v2, v2, v4, vcc
	ds_write_b64 v1, v[2:3]
.LBB23_39:
	s_or_b64 exec, exec, s[2:3]
	v_cmp_gt_u32_e32 vcc, 16, v0
	s_waitcnt lgkmcnt(0)
	s_barrier
	s_and_saveexec_b64 s[2:3], vcc
	s_cbranch_execz .LBB23_41
; %bb.40:
	ds_read2_b64 v[2:5], v1 offset1:16
	s_waitcnt lgkmcnt(0)
	v_cmp_lt_f64_e32 vcc, v[2:3], v[4:5]
	s_nop 1
	v_cndmask_b32_e32 v3, v3, v5, vcc
	v_cndmask_b32_e32 v2, v2, v4, vcc
	ds_write_b64 v1, v[2:3]
.LBB23_41:
	;; [unrolled: 15-line block ×5, first 2 shown]
	s_or_b64 exec, exec, s[2:3]
	v_cmp_eq_u32_e32 vcc, 0, v0
	s_waitcnt lgkmcnt(0)
	s_barrier
	s_and_saveexec_b64 s[4:5], vcc
	s_cbranch_execz .LBB23_49
; %bb.48:
	v_mov_b32_e32 v4, 0
	ds_read_b128 v[0:3], v4
	s_waitcnt lgkmcnt(0)
	v_cmp_lt_f64_e64 s[2:3], v[0:1], v[2:3]
	s_nop 1
	v_cndmask_b32_e64 v1, v1, v3, s[2:3]
	v_cndmask_b32_e64 v0, v0, v2, s[2:3]
	ds_write_b64 v4, v[0:1]
.LBB23_49:
	s_or_b64 exec, exec, s[4:5]
	s_waitcnt lgkmcnt(0)
	s_barrier
	s_and_saveexec_b64 s[2:3], vcc
	s_cbranch_execz .LBB23_52
; %bb.50:
	v_mbcnt_lo_u32_b32 v0, exec_lo, 0
	v_mbcnt_hi_u32_b32 v0, exec_hi, v0
	v_cmp_eq_u32_e32 vcc, 0, v0
	s_and_b64 exec, exec, vcc
	s_cbranch_execz .LBB23_52
; %bb.51:
	s_load_dwordx4 s[0:3], s[0:1], 0x70
	v_mov_b32_e32 v10, 0
	ds_read_b64 v[0:1], v10
	s_waitcnt lgkmcnt(0)
	s_load_dwordx2 s[2:3], s[2:3], 0x0
	s_waitcnt lgkmcnt(0)
	v_div_scale_f64 v[2:3], s[4:5], s[2:3], s[2:3], v[0:1]
	v_rcp_f64_e32 v[4:5], v[2:3]
	v_div_scale_f64 v[6:7], vcc, v[0:1], s[2:3], v[0:1]
	v_fma_f64 v[8:9], -v[2:3], v[4:5], 1.0
	v_fmac_f64_e32 v[4:5], v[4:5], v[8:9]
	v_fma_f64 v[8:9], -v[2:3], v[4:5], 1.0
	v_fmac_f64_e32 v[4:5], v[4:5], v[8:9]
	v_mul_f64 v[8:9], v[6:7], v[4:5]
	v_fma_f64 v[2:3], -v[2:3], v[8:9], v[6:7]
	v_div_fmas_f64 v[2:3], v[2:3], v[4:5], v[8:9]
	v_div_fixup_f64 v[0:1], v[2:3], s[2:3], v[0:1]
	global_atomic_max_f64 v10, v[0:1], s[0:1]
.LBB23_52:
	s_endpgm
	.section	.rodata,"a",@progbits
	.p2align	6, 0x0
	.amdhsa_kernel _ZN9rocsparseL16kernel_calculateILi1024ELi8ELb1EdiiEEvT4_T3_PKS2_S4_PKS1_PKT2_21rocsparse_index_base_S4_S4_S6_S4_S4_S6_S4_PS7_PNS_15floating_traitsIS7_E6data_tEPKSE_
		.amdhsa_group_segment_fixed_size 1024
		.amdhsa_private_segment_fixed_size 0
		.amdhsa_kernarg_size 128
		.amdhsa_user_sgpr_count 2
		.amdhsa_user_sgpr_dispatch_ptr 0
		.amdhsa_user_sgpr_queue_ptr 0
		.amdhsa_user_sgpr_kernarg_segment_ptr 1
		.amdhsa_user_sgpr_dispatch_id 0
		.amdhsa_user_sgpr_kernarg_preload_length 0
		.amdhsa_user_sgpr_kernarg_preload_offset 0
		.amdhsa_user_sgpr_private_segment_size 0
		.amdhsa_uses_dynamic_stack 0
		.amdhsa_enable_private_segment 0
		.amdhsa_system_sgpr_workgroup_id_x 1
		.amdhsa_system_sgpr_workgroup_id_y 0
		.amdhsa_system_sgpr_workgroup_id_z 0
		.amdhsa_system_sgpr_workgroup_info 0
		.amdhsa_system_vgpr_workitem_id 0
		.amdhsa_next_free_vgpr 32
		.amdhsa_next_free_sgpr 58
		.amdhsa_accum_offset 32
		.amdhsa_reserve_vcc 1
		.amdhsa_float_round_mode_32 0
		.amdhsa_float_round_mode_16_64 0
		.amdhsa_float_denorm_mode_32 3
		.amdhsa_float_denorm_mode_16_64 3
		.amdhsa_dx10_clamp 1
		.amdhsa_ieee_mode 1
		.amdhsa_fp16_overflow 0
		.amdhsa_tg_split 0
		.amdhsa_exception_fp_ieee_invalid_op 0
		.amdhsa_exception_fp_denorm_src 0
		.amdhsa_exception_fp_ieee_div_zero 0
		.amdhsa_exception_fp_ieee_overflow 0
		.amdhsa_exception_fp_ieee_underflow 0
		.amdhsa_exception_fp_ieee_inexact 0
		.amdhsa_exception_int_div_zero 0
	.end_amdhsa_kernel
	.section	.text._ZN9rocsparseL16kernel_calculateILi1024ELi8ELb1EdiiEEvT4_T3_PKS2_S4_PKS1_PKT2_21rocsparse_index_base_S4_S4_S6_S4_S4_S6_S4_PS7_PNS_15floating_traitsIS7_E6data_tEPKSE_,"axG",@progbits,_ZN9rocsparseL16kernel_calculateILi1024ELi8ELb1EdiiEEvT4_T3_PKS2_S4_PKS1_PKT2_21rocsparse_index_base_S4_S4_S6_S4_S4_S6_S4_PS7_PNS_15floating_traitsIS7_E6data_tEPKSE_,comdat
.Lfunc_end23:
	.size	_ZN9rocsparseL16kernel_calculateILi1024ELi8ELb1EdiiEEvT4_T3_PKS2_S4_PKS1_PKT2_21rocsparse_index_base_S4_S4_S6_S4_S4_S6_S4_PS7_PNS_15floating_traitsIS7_E6data_tEPKSE_, .Lfunc_end23-_ZN9rocsparseL16kernel_calculateILi1024ELi8ELb1EdiiEEvT4_T3_PKS2_S4_PKS1_PKT2_21rocsparse_index_base_S4_S4_S6_S4_S4_S6_S4_PS7_PNS_15floating_traitsIS7_E6data_tEPKSE_
                                        ; -- End function
	.set _ZN9rocsparseL16kernel_calculateILi1024ELi8ELb1EdiiEEvT4_T3_PKS2_S4_PKS1_PKT2_21rocsparse_index_base_S4_S4_S6_S4_S4_S6_S4_PS7_PNS_15floating_traitsIS7_E6data_tEPKSE_.num_vgpr, 32
	.set _ZN9rocsparseL16kernel_calculateILi1024ELi8ELb1EdiiEEvT4_T3_PKS2_S4_PKS1_PKT2_21rocsparse_index_base_S4_S4_S6_S4_S4_S6_S4_PS7_PNS_15floating_traitsIS7_E6data_tEPKSE_.num_agpr, 0
	.set _ZN9rocsparseL16kernel_calculateILi1024ELi8ELb1EdiiEEvT4_T3_PKS2_S4_PKS1_PKT2_21rocsparse_index_base_S4_S4_S6_S4_S4_S6_S4_PS7_PNS_15floating_traitsIS7_E6data_tEPKSE_.numbered_sgpr, 58
	.set _ZN9rocsparseL16kernel_calculateILi1024ELi8ELb1EdiiEEvT4_T3_PKS2_S4_PKS1_PKT2_21rocsparse_index_base_S4_S4_S6_S4_S4_S6_S4_PS7_PNS_15floating_traitsIS7_E6data_tEPKSE_.num_named_barrier, 0
	.set _ZN9rocsparseL16kernel_calculateILi1024ELi8ELb1EdiiEEvT4_T3_PKS2_S4_PKS1_PKT2_21rocsparse_index_base_S4_S4_S6_S4_S4_S6_S4_PS7_PNS_15floating_traitsIS7_E6data_tEPKSE_.private_seg_size, 0
	.set _ZN9rocsparseL16kernel_calculateILi1024ELi8ELb1EdiiEEvT4_T3_PKS2_S4_PKS1_PKT2_21rocsparse_index_base_S4_S4_S6_S4_S4_S6_S4_PS7_PNS_15floating_traitsIS7_E6data_tEPKSE_.uses_vcc, 1
	.set _ZN9rocsparseL16kernel_calculateILi1024ELi8ELb1EdiiEEvT4_T3_PKS2_S4_PKS1_PKT2_21rocsparse_index_base_S4_S4_S6_S4_S4_S6_S4_PS7_PNS_15floating_traitsIS7_E6data_tEPKSE_.uses_flat_scratch, 0
	.set _ZN9rocsparseL16kernel_calculateILi1024ELi8ELb1EdiiEEvT4_T3_PKS2_S4_PKS1_PKT2_21rocsparse_index_base_S4_S4_S6_S4_S4_S6_S4_PS7_PNS_15floating_traitsIS7_E6data_tEPKSE_.has_dyn_sized_stack, 0
	.set _ZN9rocsparseL16kernel_calculateILi1024ELi8ELb1EdiiEEvT4_T3_PKS2_S4_PKS1_PKT2_21rocsparse_index_base_S4_S4_S6_S4_S4_S6_S4_PS7_PNS_15floating_traitsIS7_E6data_tEPKSE_.has_recursion, 0
	.set _ZN9rocsparseL16kernel_calculateILi1024ELi8ELb1EdiiEEvT4_T3_PKS2_S4_PKS1_PKT2_21rocsparse_index_base_S4_S4_S6_S4_S4_S6_S4_PS7_PNS_15floating_traitsIS7_E6data_tEPKSE_.has_indirect_call, 0
	.section	.AMDGPU.csdata,"",@progbits
; Kernel info:
; codeLenInByte = 2068
; TotalNumSgprs: 64
; NumVgprs: 32
; NumAgprs: 0
; TotalNumVgprs: 32
; ScratchSize: 0
; MemoryBound: 1
; FloatMode: 240
; IeeeMode: 1
; LDSByteSize: 1024 bytes/workgroup (compile time only)
; SGPRBlocks: 7
; VGPRBlocks: 3
; NumSGPRsForWavesPerEU: 64
; NumVGPRsForWavesPerEU: 32
; AccumOffset: 32
; Occupancy: 8
; WaveLimiterHint : 1
; COMPUTE_PGM_RSRC2:SCRATCH_EN: 0
; COMPUTE_PGM_RSRC2:USER_SGPR: 2
; COMPUTE_PGM_RSRC2:TRAP_HANDLER: 0
; COMPUTE_PGM_RSRC2:TGID_X_EN: 1
; COMPUTE_PGM_RSRC2:TGID_Y_EN: 0
; COMPUTE_PGM_RSRC2:TGID_Z_EN: 0
; COMPUTE_PGM_RSRC2:TIDIG_COMP_CNT: 0
; COMPUTE_PGM_RSRC3_GFX90A:ACCUM_OFFSET: 7
; COMPUTE_PGM_RSRC3_GFX90A:TG_SPLIT: 0
	.section	.text._ZN9rocsparseL16kernel_calculateILi1024ELi16ELb1EdiiEEvT4_T3_PKS2_S4_PKS1_PKT2_21rocsparse_index_base_S4_S4_S6_S4_S4_S6_S4_PS7_PNS_15floating_traitsIS7_E6data_tEPKSE_,"axG",@progbits,_ZN9rocsparseL16kernel_calculateILi1024ELi16ELb1EdiiEEvT4_T3_PKS2_S4_PKS1_PKT2_21rocsparse_index_base_S4_S4_S6_S4_S4_S6_S4_PS7_PNS_15floating_traitsIS7_E6data_tEPKSE_,comdat
	.globl	_ZN9rocsparseL16kernel_calculateILi1024ELi16ELb1EdiiEEvT4_T3_PKS2_S4_PKS1_PKT2_21rocsparse_index_base_S4_S4_S6_S4_S4_S6_S4_PS7_PNS_15floating_traitsIS7_E6data_tEPKSE_ ; -- Begin function _ZN9rocsparseL16kernel_calculateILi1024ELi16ELb1EdiiEEvT4_T3_PKS2_S4_PKS1_PKT2_21rocsparse_index_base_S4_S4_S6_S4_S4_S6_S4_PS7_PNS_15floating_traitsIS7_E6data_tEPKSE_
	.p2align	8
	.type	_ZN9rocsparseL16kernel_calculateILi1024ELi16ELb1EdiiEEvT4_T3_PKS2_S4_PKS1_PKT2_21rocsparse_index_base_S4_S4_S6_S4_S4_S6_S4_PS7_PNS_15floating_traitsIS7_E6data_tEPKSE_,@function
_ZN9rocsparseL16kernel_calculateILi1024ELi16ELb1EdiiEEvT4_T3_PKS2_S4_PKS1_PKT2_21rocsparse_index_base_S4_S4_S6_S4_S4_S6_S4_PS7_PNS_15floating_traitsIS7_E6data_tEPKSE_: ; @_ZN9rocsparseL16kernel_calculateILi1024ELi16ELb1EdiiEEvT4_T3_PKS2_S4_PKS1_PKT2_21rocsparse_index_base_S4_S4_S6_S4_S4_S6_S4_PS7_PNS_15floating_traitsIS7_E6data_tEPKSE_
; %bb.0:
	s_load_dword s33, s[0:1], 0x0
	v_lshrrev_b32_e32 v1, 4, v0
	v_lshl_or_b32 v27, s2, 10, v1
	v_and_b32_e32 v26, 15, v0
	v_mov_b64_e32 v[2:3], 0
	s_waitcnt lgkmcnt(0)
	v_cmp_gt_i32_e32 vcc, s33, v27
	s_and_saveexec_b64 s[6:7], vcc
	s_cbranch_execz .LBB24_33
; %bb.1:
	s_load_dword s52, s[0:1], 0x28
	s_load_dwordx8 s[8:15], s[0:1], 0x50
	s_load_dwordx8 s[16:23], s[0:1], 0x30
	;; [unrolled: 1-line block ×3, first 2 shown]
	s_mov_b32 s34, 0
	v_mov_b64_e32 v[2:3], 0
	s_waitcnt lgkmcnt(0)
	v_subrev_u32_e32 v28, s52, v26
	s_mov_b32 s53, 0
	s_movk_i32 s54, 0x1f8
	s_mov_b32 s35, 0x7ff00000
	s_branch .LBB24_5
.LBB24_2:                               ;   in Loop: Header=BB24_5 Depth=1
	s_or_b64 exec, exec, s[40:41]
.LBB24_3:                               ;   in Loop: Header=BB24_5 Depth=1
	s_or_b64 exec, exec, s[38:39]
.LBB24_4:                               ;   in Loop: Header=BB24_5 Depth=1
	s_or_b64 exec, exec, s[36:37]
	s_add_i32 s53, s53, 1
	s_cmp_lg_u32 s53, 16
	s_cbranch_scc0 .LBB24_33
.LBB24_5:                               ; =>This Loop Header: Depth=1
                                        ;     Child Loop BB24_9 Depth 2
                                        ;       Child Loop BB24_12 Depth 3
                                        ;       Child Loop BB24_18 Depth 3
	;; [unrolled: 1-line block ×3, first 2 shown]
	v_lshl_add_u32 v4, s53, 6, v27
	v_cmp_gt_i32_e32 vcc, s33, v4
	s_and_saveexec_b64 s[36:37], vcc
	s_cbranch_execz .LBB24_4
; %bb.6:                                ;   in Loop: Header=BB24_5 Depth=1
	v_ashrrev_i32_e32 v5, 31, v4
	v_lshlrev_b64 v[8:9], 2, v[4:5]
	v_lshl_add_u64 v[6:7], s[26:27], 0, v[8:9]
	global_load_dword v5, v[6:7], off
	v_lshl_add_u64 v[6:7], s[24:25], 0, v[8:9]
	global_load_dword v6, v[6:7], off
	s_waitcnt vmcnt(1)
	v_subrev_u32_e32 v5, s52, v5
	s_waitcnt vmcnt(0)
	v_add_u32_e32 v6, v28, v6
	v_cmp_lt_i32_e32 vcc, v6, v5
	s_and_saveexec_b64 s[38:39], vcc
	s_cbranch_execz .LBB24_3
; %bb.7:                                ;   in Loop: Header=BB24_5 Depth=1
	v_lshl_add_u64 v[10:11], s[18:19], 0, v[8:9]
	v_lshl_add_u64 v[8:9], s[16:17], 0, v[8:9]
	global_load_dword v7, v[10:11], off
	s_mov_b64 s[40:41], 0
	global_load_dword v8, v[8:9], off
	s_waitcnt vmcnt(1)
	v_subrev_u32_e32 v29, s52, v7
	s_waitcnt vmcnt(0)
	v_subrev_u32_e32 v30, s52, v8
	v_cmp_lt_i32_e64 s[2:3], v8, v7
	s_branch .LBB24_9
.LBB24_8:                               ;   in Loop: Header=BB24_9 Depth=2
	s_or_b64 exec, exec, s[4:5]
	v_add_f64 v[10:11], v[10:11], v[18:19]
	v_cmp_eq_u32_e32 vcc, v4, v8
	v_add_u32_e32 v6, 16, v6
	s_nop 0
	v_cndmask_b32_e32 v9, v19, v11, vcc
	v_cndmask_b32_e32 v8, v18, v10, vcc
	v_cmp_nlg_f64_e64 s[4:5], |v[8:9]|, s[34:35]
	v_cmp_gt_f64_e64 s[42:43], v[2:3], |v[8:9]|
	v_and_b32_e32 v7, 0x7fffffff, v9
	s_or_b64 vcc, s[4:5], s[42:43]
	v_cmp_ge_i32_e64 s[4:5], v6, v5
	v_cndmask_b32_e32 v3, v7, v3, vcc
	s_or_b64 s[40:41], s[4:5], s[40:41]
	v_cndmask_b32_e32 v2, v8, v2, vcc
	s_andn2_b64 exec, exec, s[40:41]
	s_cbranch_execz .LBB24_2
.LBB24_9:                               ;   Parent Loop BB24_5 Depth=1
                                        ; =>  This Loop Header: Depth=2
                                        ;       Child Loop BB24_12 Depth 3
                                        ;       Child Loop BB24_18 Depth 3
	;; [unrolled: 1-line block ×3, first 2 shown]
	v_ashrrev_i32_e32 v7, 31, v6
	v_lshl_add_u64 v[8:9], v[6:7], 2, s[28:29]
	global_load_dword v31, v[8:9], off
	v_lshl_add_u64 v[14:15], v[6:7], 3, s[30:31]
	s_waitcnt vmcnt(0)
	v_subrev_u32_e32 v8, s52, v31
	v_ashrrev_i32_e32 v9, 31, v8
	v_lshlrev_b64 v[10:11], 2, v[8:9]
	v_lshl_add_u64 v[12:13], s[18:19], 0, v[10:11]
	global_load_dword v9, v[12:13], off
	v_lshl_add_u64 v[12:13], s[8:9], 0, v[10:11]
	v_lshl_add_u64 v[10:11], s[22:23], 0, v[10:11]
	global_load_dword v16, v[12:13], off
	global_load_dword v17, v[10:11], off
	s_nop 0
	global_load_dwordx2 v[12:13], v[14:15], off
	v_mov_b64_e32 v[14:15], 0
	s_waitcnt vmcnt(3)
	v_subrev_u32_e32 v10, s52, v9
	v_ashrrev_i32_e32 v11, 31, v10
	v_lshl_add_u64 v[10:11], v[10:11], 3, s[14:15]
	global_load_dwordx2 v[10:11], v[10:11], off
	s_waitcnt vmcnt(2)
	v_cmp_lt_i32_e32 vcc, v17, v16
	v_subrev_u32_e32 v9, s52, v16
	v_subrev_u32_e32 v20, s52, v17
	s_and_b64 s[4:5], s[2:3], vcc
	v_mov_b32_e32 v16, v30
	s_and_saveexec_b64 s[42:43], s[4:5]
	s_cbranch_execz .LBB24_15
; %bb.10:                               ;   in Loop: Header=BB24_9 Depth=2
	v_mov_b64_e32 v[14:15], 0
	s_mov_b64 s[44:45], 0
	v_mov_b32_e32 v16, v30
	s_branch .LBB24_12
.LBB24_11:                              ;   in Loop: Header=BB24_12 Depth=3
	s_or_b64 exec, exec, s[4:5]
	v_cmp_le_i32_e32 vcc, v18, v19
	s_nop 1
	v_addc_co_u32_e32 v16, vcc, 0, v16, vcc
	v_cmp_ge_i32_e32 vcc, v18, v19
	s_nop 1
	v_addc_co_u32_e32 v20, vcc, 0, v20, vcc
	v_cmp_ge_i32_e32 vcc, v16, v29
	v_cmp_ge_i32_e64 s[4:5], v20, v9
	s_or_b64 s[4:5], vcc, s[4:5]
	s_and_b64 s[4:5], exec, s[4:5]
	s_or_b64 s[44:45], s[4:5], s[44:45]
	s_andn2_b64 exec, exec, s[44:45]
	s_cbranch_execz .LBB24_14
.LBB24_12:                              ;   Parent Loop BB24_5 Depth=1
                                        ;     Parent Loop BB24_9 Depth=2
                                        ; =>    This Inner Loop Header: Depth=3
	v_ashrrev_i32_e32 v17, 31, v16
	v_ashrrev_i32_e32 v21, 31, v20
	v_lshl_add_u64 v[18:19], v[16:17], 2, s[20:21]
	v_lshl_add_u64 v[22:23], v[20:21], 2, s[10:11]
	global_load_dword v18, v[18:19], off
	s_nop 0
	global_load_dword v19, v[22:23], off
	s_waitcnt vmcnt(0)
	v_cmp_eq_u32_e32 vcc, v18, v19
	s_and_saveexec_b64 s[4:5], vcc
	s_cbranch_execz .LBB24_11
; %bb.13:                               ;   in Loop: Header=BB24_12 Depth=3
	v_lshl_add_u64 v[22:23], v[20:21], 2, s[12:13]
	global_load_dword v22, v[22:23], off
	v_lshl_add_u64 v[24:25], v[16:17], 3, s[14:15]
	global_load_dwordx2 v[24:25], v[24:25], off
	s_waitcnt vmcnt(1)
	v_ashrrev_i32_e32 v23, 31, v22
	v_lshl_add_u64 v[22:23], v[22:23], 3, s[14:15]
	global_load_dwordx2 v[22:23], v[22:23], off
	s_waitcnt vmcnt(0)
	v_fmac_f64_e32 v[14:15], v[24:25], v[22:23]
	s_branch .LBB24_11
.LBB24_14:                              ;   in Loop: Header=BB24_9 Depth=2
	s_or_b64 exec, exec, s[44:45]
.LBB24_15:                              ;   in Loop: Header=BB24_9 Depth=2
	s_or_b64 exec, exec, s[42:43]
	s_waitcnt vmcnt(1)
	v_add_f64 v[18:19], v[14:15], -v[12:13]
	v_cmp_lt_i32_e32 vcc, v20, v9
	s_and_saveexec_b64 s[4:5], vcc
	s_cbranch_execz .LBB24_23
; %bb.16:                               ;   in Loop: Header=BB24_9 Depth=2
	v_ashrrev_i32_e32 v21, 31, v20
	v_lshl_add_u64 v[22:23], v[20:21], 2, s[10:11]
	s_mov_b64 s[42:43], 0
                                        ; implicit-def: $sgpr44_sgpr45
                                        ; implicit-def: $sgpr48_sgpr49
                                        ; implicit-def: $sgpr46_sgpr47
	s_branch .LBB24_18
.LBB24_17:                              ;   in Loop: Header=BB24_18 Depth=3
	s_or_b64 exec, exec, s[50:51]
	s_and_b64 s[50:51], exec, s[48:49]
	s_or_b64 s[42:43], s[50:51], s[42:43]
	s_andn2_b64 s[44:45], s[44:45], exec
	s_and_b64 s[50:51], s[46:47], exec
	s_or_b64 s[44:45], s[44:45], s[50:51]
	s_andn2_b64 exec, exec, s[42:43]
	s_cbranch_execz .LBB24_20
.LBB24_18:                              ;   Parent Loop BB24_5 Depth=1
                                        ;     Parent Loop BB24_9 Depth=2
                                        ; =>    This Inner Loop Header: Depth=3
	global_load_dword v17, v[22:23], off
	v_mov_b64_e32 v[24:25], v[20:21]
	s_or_b64 s[46:47], s[46:47], exec
	s_or_b64 s[48:49], s[48:49], exec
                                        ; implicit-def: $vgpr20_vgpr21
	s_waitcnt vmcnt(0)
	v_subrev_u32_e32 v17, s52, v17
	v_cmp_ne_u32_e32 vcc, v17, v4
	s_and_saveexec_b64 s[50:51], vcc
	s_cbranch_execz .LBB24_17
; %bb.19:                               ;   in Loop: Header=BB24_18 Depth=3
	v_lshl_add_u64 v[20:21], v[24:25], 0, 1
	v_cmp_ge_i32_e32 vcc, v20, v9
	s_andn2_b64 s[48:49], s[48:49], exec
	s_and_b64 s[56:57], vcc, exec
	v_lshl_add_u64 v[22:23], v[22:23], 0, 4
	s_andn2_b64 s[46:47], s[46:47], exec
	s_or_b64 s[48:49], s[48:49], s[56:57]
	s_branch .LBB24_17
.LBB24_20:                              ;   in Loop: Header=BB24_9 Depth=2
	s_or_b64 exec, exec, s[42:43]
	s_and_saveexec_b64 s[42:43], s[44:45]
	s_xor_b64 s[42:43], exec, s[42:43]
	s_cbranch_execz .LBB24_22
; %bb.21:                               ;   in Loop: Header=BB24_9 Depth=2
	v_lshl_add_u64 v[20:21], v[24:25], 2, s[12:13]
	global_load_dword v20, v[20:21], off
	s_waitcnt vmcnt(0)
	v_ashrrev_i32_e32 v21, 31, v20
	v_lshl_add_u64 v[20:21], v[20:21], 3, s[14:15]
	global_load_dwordx2 v[20:21], v[20:21], off
	s_waitcnt vmcnt(0)
	v_add_f64 v[18:19], v[18:19], v[20:21]
.LBB24_22:                              ;   in Loop: Header=BB24_9 Depth=2
	s_or_b64 exec, exec, s[42:43]
.LBB24_23:                              ;   in Loop: Header=BB24_9 Depth=2
	s_or_b64 exec, exec, s[4:5]
	v_cmp_lt_i32_e32 vcc, v16, v29
	s_and_saveexec_b64 s[4:5], vcc
	s_cbranch_execz .LBB24_31
; %bb.24:                               ;   in Loop: Header=BB24_9 Depth=2
	v_ashrrev_i32_e32 v17, 31, v16
	v_lshl_add_u64 v[20:21], v[16:17], 2, s[20:21]
	s_mov_b64 s[42:43], 0
                                        ; implicit-def: $sgpr44_sgpr45
                                        ; implicit-def: $sgpr48_sgpr49
                                        ; implicit-def: $sgpr46_sgpr47
	s_branch .LBB24_26
.LBB24_25:                              ;   in Loop: Header=BB24_26 Depth=3
	s_or_b64 exec, exec, s[50:51]
	s_and_b64 s[50:51], exec, s[48:49]
	s_or_b64 s[42:43], s[50:51], s[42:43]
	s_andn2_b64 s[44:45], s[44:45], exec
	s_and_b64 s[50:51], s[46:47], exec
	s_or_b64 s[44:45], s[44:45], s[50:51]
	s_andn2_b64 exec, exec, s[42:43]
	s_cbranch_execz .LBB24_28
.LBB24_26:                              ;   Parent Loop BB24_5 Depth=1
                                        ;     Parent Loop BB24_9 Depth=2
                                        ; =>    This Inner Loop Header: Depth=3
	global_load_dword v9, v[20:21], off
	v_mov_b64_e32 v[22:23], v[16:17]
	s_or_b64 s[46:47], s[46:47], exec
	s_or_b64 s[48:49], s[48:49], exec
                                        ; implicit-def: $vgpr16_vgpr17
	s_waitcnt vmcnt(0)
	v_cmp_ne_u32_e32 vcc, v9, v31
	s_and_saveexec_b64 s[50:51], vcc
	s_cbranch_execz .LBB24_25
; %bb.27:                               ;   in Loop: Header=BB24_26 Depth=3
	v_lshl_add_u64 v[16:17], v[22:23], 0, 1
	v_cmp_ge_i32_e32 vcc, v16, v29
	s_andn2_b64 s[48:49], s[48:49], exec
	s_and_b64 s[56:57], vcc, exec
	v_lshl_add_u64 v[20:21], v[20:21], 0, 4
	s_andn2_b64 s[46:47], s[46:47], exec
	s_or_b64 s[48:49], s[48:49], s[56:57]
	s_branch .LBB24_25
.LBB24_28:                              ;   in Loop: Header=BB24_9 Depth=2
	s_or_b64 exec, exec, s[42:43]
	s_and_saveexec_b64 s[42:43], s[44:45]
	s_xor_b64 s[42:43], exec, s[42:43]
	s_cbranch_execz .LBB24_30
; %bb.29:                               ;   in Loop: Header=BB24_9 Depth=2
	v_lshl_add_u64 v[16:17], v[22:23], 3, s[14:15]
	global_load_dwordx2 v[16:17], v[16:17], off
	s_waitcnt vmcnt(0)
	v_fmac_f64_e32 v[18:19], v[16:17], v[10:11]
.LBB24_30:                              ;   in Loop: Header=BB24_9 Depth=2
	s_or_b64 exec, exec, s[42:43]
.LBB24_31:                              ;   in Loop: Header=BB24_9 Depth=2
	s_or_b64 exec, exec, s[4:5]
	v_add_f64 v[12:13], v[12:13], -v[14:15]
	s_waitcnt vmcnt(0)
	v_div_scale_f64 v[14:15], s[4:5], v[10:11], v[10:11], v[12:13]
	v_rcp_f64_e32 v[16:17], v[14:15]
	v_div_scale_f64 v[20:21], vcc, v[12:13], v[10:11], v[12:13]
	v_fma_f64 v[22:23], -v[14:15], v[16:17], 1.0
	v_fmac_f64_e32 v[16:17], v[16:17], v[22:23]
	v_fma_f64 v[22:23], -v[14:15], v[16:17], 1.0
	v_fmac_f64_e32 v[16:17], v[16:17], v[22:23]
	v_mul_f64 v[22:23], v[20:21], v[16:17]
	v_fma_f64 v[14:15], -v[14:15], v[22:23], v[20:21]
	v_div_fmas_f64 v[14:15], v[14:15], v[16:17], v[22:23]
	v_div_fixup_f64 v[14:15], v[14:15], v[10:11], v[12:13]
	v_cmp_gt_i32_e32 vcc, v4, v8
	s_nop 1
	v_cndmask_b32_e32 v13, v13, v15, vcc
	v_cndmask_b32_e32 v12, v12, v14, vcc
	v_cmp_class_f64_e64 s[42:43], v[12:13], s54
	s_and_saveexec_b64 s[4:5], s[42:43]
	s_cbranch_execz .LBB24_8
; %bb.32:                               ;   in Loop: Header=BB24_9 Depth=2
	v_lshl_add_u64 v[14:15], v[6:7], 3, s[14:15]
	global_store_dwordx2 v[14:15], v[12:13], off
	s_branch .LBB24_8
.LBB24_33:
	s_or_b64 exec, exec, s[6:7]
	v_mov_b32_dpp v4, v2 row_shr:1 row_mask:0xf bank_mask:0xf
	v_mov_b32_dpp v5, v3 row_shr:1 row_mask:0xf bank_mask:0xf
	v_cmp_lt_f64_e32 vcc, v[2:3], v[4:5]
	s_nop 1
	v_cndmask_b32_e32 v3, v3, v5, vcc
	v_cndmask_b32_e32 v2, v2, v4, vcc
	s_nop 0
	v_mov_b32_dpp v5, v3 row_shr:2 row_mask:0xf bank_mask:0xf
	v_mov_b32_dpp v4, v2 row_shr:2 row_mask:0xf bank_mask:0xf
	v_cmp_lt_f64_e32 vcc, v[2:3], v[4:5]
	s_nop 1
	v_cndmask_b32_e32 v3, v3, v5, vcc
	v_cndmask_b32_e32 v2, v2, v4, vcc
	s_nop 0
	v_mov_b32_dpp v5, v3 row_shr:4 row_mask:0xf bank_mask:0xe
	v_mov_b32_dpp v4, v2 row_shr:4 row_mask:0xf bank_mask:0xe
	v_cmp_lt_f64_e32 vcc, v[2:3], v[4:5]
	s_nop 1
	v_cndmask_b32_e32 v3, v3, v5, vcc
	v_cndmask_b32_e32 v2, v2, v4, vcc
	v_cmp_eq_u32_e32 vcc, 15, v26
	v_mov_b32_dpp v6, v3 row_shr:8 row_mask:0xf bank_mask:0xc
	v_mov_b32_dpp v4, v2 row_shr:8 row_mask:0xf bank_mask:0xc
	s_and_saveexec_b64 s[2:3], vcc
	s_cbranch_execz .LBB24_35
; %bb.34:
	v_mov_b32_e32 v5, v6
	v_cmp_lt_f64_e32 vcc, v[2:3], v[4:5]
	v_lshlrev_b32_e32 v1, 3, v1
	s_nop 0
	v_cndmask_b32_e32 v3, v3, v6, vcc
	v_cndmask_b32_e32 v2, v2, v4, vcc
	ds_write_b64 v1, v[2:3]
.LBB24_35:
	s_or_b64 exec, exec, s[2:3]
	v_cmp_gt_u32_e32 vcc, 32, v0
	v_lshlrev_b32_e32 v1, 3, v0
	s_waitcnt lgkmcnt(0)
	s_barrier
	s_and_saveexec_b64 s[2:3], vcc
	s_cbranch_execz .LBB24_37
; %bb.36:
	ds_read2_b64 v[2:5], v1 offset1:32
	s_waitcnt lgkmcnt(0)
	v_cmp_lt_f64_e32 vcc, v[2:3], v[4:5]
	s_nop 1
	v_cndmask_b32_e32 v3, v3, v5, vcc
	v_cndmask_b32_e32 v2, v2, v4, vcc
	ds_write_b64 v1, v[2:3]
.LBB24_37:
	s_or_b64 exec, exec, s[2:3]
	v_cmp_gt_u32_e32 vcc, 16, v0
	s_waitcnt lgkmcnt(0)
	s_barrier
	s_and_saveexec_b64 s[2:3], vcc
	s_cbranch_execz .LBB24_39
; %bb.38:
	ds_read2_b64 v[2:5], v1 offset1:16
	s_waitcnt lgkmcnt(0)
	v_cmp_lt_f64_e32 vcc, v[2:3], v[4:5]
	s_nop 1
	v_cndmask_b32_e32 v3, v3, v5, vcc
	v_cndmask_b32_e32 v2, v2, v4, vcc
	ds_write_b64 v1, v[2:3]
.LBB24_39:
	s_or_b64 exec, exec, s[2:3]
	v_cmp_gt_u32_e32 vcc, 8, v0
	;; [unrolled: 15-line block ×4, first 2 shown]
	s_waitcnt lgkmcnt(0)
	s_barrier
	s_and_saveexec_b64 s[2:3], vcc
	s_cbranch_execz .LBB24_45
; %bb.44:
	ds_read2_b64 v[2:5], v1 offset1:2
	s_waitcnt lgkmcnt(0)
	v_cmp_lt_f64_e32 vcc, v[2:3], v[4:5]
	s_nop 1
	v_cndmask_b32_e32 v3, v3, v5, vcc
	v_cndmask_b32_e32 v2, v2, v4, vcc
	ds_write_b64 v1, v[2:3]
.LBB24_45:
	s_or_b64 exec, exec, s[2:3]
	v_cmp_eq_u32_e32 vcc, 0, v0
	s_waitcnt lgkmcnt(0)
	s_barrier
	s_and_saveexec_b64 s[4:5], vcc
	s_cbranch_execz .LBB24_47
; %bb.46:
	v_mov_b32_e32 v4, 0
	ds_read_b128 v[0:3], v4
	s_waitcnt lgkmcnt(0)
	v_cmp_lt_f64_e64 s[2:3], v[0:1], v[2:3]
	s_nop 1
	v_cndmask_b32_e64 v1, v1, v3, s[2:3]
	v_cndmask_b32_e64 v0, v0, v2, s[2:3]
	ds_write_b64 v4, v[0:1]
.LBB24_47:
	s_or_b64 exec, exec, s[4:5]
	s_waitcnt lgkmcnt(0)
	s_barrier
	s_and_saveexec_b64 s[2:3], vcc
	s_cbranch_execz .LBB24_50
; %bb.48:
	v_mbcnt_lo_u32_b32 v0, exec_lo, 0
	v_mbcnt_hi_u32_b32 v0, exec_hi, v0
	v_cmp_eq_u32_e32 vcc, 0, v0
	s_and_b64 exec, exec, vcc
	s_cbranch_execz .LBB24_50
; %bb.49:
	s_load_dwordx4 s[0:3], s[0:1], 0x70
	v_mov_b32_e32 v10, 0
	ds_read_b64 v[0:1], v10
	s_waitcnt lgkmcnt(0)
	s_load_dwordx2 s[2:3], s[2:3], 0x0
	s_waitcnt lgkmcnt(0)
	v_div_scale_f64 v[2:3], s[4:5], s[2:3], s[2:3], v[0:1]
	v_rcp_f64_e32 v[4:5], v[2:3]
	v_div_scale_f64 v[6:7], vcc, v[0:1], s[2:3], v[0:1]
	v_fma_f64 v[8:9], -v[2:3], v[4:5], 1.0
	v_fmac_f64_e32 v[4:5], v[4:5], v[8:9]
	v_fma_f64 v[8:9], -v[2:3], v[4:5], 1.0
	v_fmac_f64_e32 v[4:5], v[4:5], v[8:9]
	v_mul_f64 v[8:9], v[6:7], v[4:5]
	v_fma_f64 v[2:3], -v[2:3], v[8:9], v[6:7]
	v_div_fmas_f64 v[2:3], v[2:3], v[4:5], v[8:9]
	v_div_fixup_f64 v[0:1], v[2:3], s[2:3], v[0:1]
	global_atomic_max_f64 v10, v[0:1], s[0:1]
.LBB24_50:
	s_endpgm
	.section	.rodata,"a",@progbits
	.p2align	6, 0x0
	.amdhsa_kernel _ZN9rocsparseL16kernel_calculateILi1024ELi16ELb1EdiiEEvT4_T3_PKS2_S4_PKS1_PKT2_21rocsparse_index_base_S4_S4_S6_S4_S4_S6_S4_PS7_PNS_15floating_traitsIS7_E6data_tEPKSE_
		.amdhsa_group_segment_fixed_size 512
		.amdhsa_private_segment_fixed_size 0
		.amdhsa_kernarg_size 128
		.amdhsa_user_sgpr_count 2
		.amdhsa_user_sgpr_dispatch_ptr 0
		.amdhsa_user_sgpr_queue_ptr 0
		.amdhsa_user_sgpr_kernarg_segment_ptr 1
		.amdhsa_user_sgpr_dispatch_id 0
		.amdhsa_user_sgpr_kernarg_preload_length 0
		.amdhsa_user_sgpr_kernarg_preload_offset 0
		.amdhsa_user_sgpr_private_segment_size 0
		.amdhsa_uses_dynamic_stack 0
		.amdhsa_enable_private_segment 0
		.amdhsa_system_sgpr_workgroup_id_x 1
		.amdhsa_system_sgpr_workgroup_id_y 0
		.amdhsa_system_sgpr_workgroup_id_z 0
		.amdhsa_system_sgpr_workgroup_info 0
		.amdhsa_system_vgpr_workitem_id 0
		.amdhsa_next_free_vgpr 32
		.amdhsa_next_free_sgpr 58
		.amdhsa_accum_offset 32
		.amdhsa_reserve_vcc 1
		.amdhsa_float_round_mode_32 0
		.amdhsa_float_round_mode_16_64 0
		.amdhsa_float_denorm_mode_32 3
		.amdhsa_float_denorm_mode_16_64 3
		.amdhsa_dx10_clamp 1
		.amdhsa_ieee_mode 1
		.amdhsa_fp16_overflow 0
		.amdhsa_tg_split 0
		.amdhsa_exception_fp_ieee_invalid_op 0
		.amdhsa_exception_fp_denorm_src 0
		.amdhsa_exception_fp_ieee_div_zero 0
		.amdhsa_exception_fp_ieee_overflow 0
		.amdhsa_exception_fp_ieee_underflow 0
		.amdhsa_exception_fp_ieee_inexact 0
		.amdhsa_exception_int_div_zero 0
	.end_amdhsa_kernel
	.section	.text._ZN9rocsparseL16kernel_calculateILi1024ELi16ELb1EdiiEEvT4_T3_PKS2_S4_PKS1_PKT2_21rocsparse_index_base_S4_S4_S6_S4_S4_S6_S4_PS7_PNS_15floating_traitsIS7_E6data_tEPKSE_,"axG",@progbits,_ZN9rocsparseL16kernel_calculateILi1024ELi16ELb1EdiiEEvT4_T3_PKS2_S4_PKS1_PKT2_21rocsparse_index_base_S4_S4_S6_S4_S4_S6_S4_PS7_PNS_15floating_traitsIS7_E6data_tEPKSE_,comdat
.Lfunc_end24:
	.size	_ZN9rocsparseL16kernel_calculateILi1024ELi16ELb1EdiiEEvT4_T3_PKS2_S4_PKS1_PKT2_21rocsparse_index_base_S4_S4_S6_S4_S4_S6_S4_PS7_PNS_15floating_traitsIS7_E6data_tEPKSE_, .Lfunc_end24-_ZN9rocsparseL16kernel_calculateILi1024ELi16ELb1EdiiEEvT4_T3_PKS2_S4_PKS1_PKT2_21rocsparse_index_base_S4_S4_S6_S4_S4_S6_S4_PS7_PNS_15floating_traitsIS7_E6data_tEPKSE_
                                        ; -- End function
	.set _ZN9rocsparseL16kernel_calculateILi1024ELi16ELb1EdiiEEvT4_T3_PKS2_S4_PKS1_PKT2_21rocsparse_index_base_S4_S4_S6_S4_S4_S6_S4_PS7_PNS_15floating_traitsIS7_E6data_tEPKSE_.num_vgpr, 32
	.set _ZN9rocsparseL16kernel_calculateILi1024ELi16ELb1EdiiEEvT4_T3_PKS2_S4_PKS1_PKT2_21rocsparse_index_base_S4_S4_S6_S4_S4_S6_S4_PS7_PNS_15floating_traitsIS7_E6data_tEPKSE_.num_agpr, 0
	.set _ZN9rocsparseL16kernel_calculateILi1024ELi16ELb1EdiiEEvT4_T3_PKS2_S4_PKS1_PKT2_21rocsparse_index_base_S4_S4_S6_S4_S4_S6_S4_PS7_PNS_15floating_traitsIS7_E6data_tEPKSE_.numbered_sgpr, 58
	.set _ZN9rocsparseL16kernel_calculateILi1024ELi16ELb1EdiiEEvT4_T3_PKS2_S4_PKS1_PKT2_21rocsparse_index_base_S4_S4_S6_S4_S4_S6_S4_PS7_PNS_15floating_traitsIS7_E6data_tEPKSE_.num_named_barrier, 0
	.set _ZN9rocsparseL16kernel_calculateILi1024ELi16ELb1EdiiEEvT4_T3_PKS2_S4_PKS1_PKT2_21rocsparse_index_base_S4_S4_S6_S4_S4_S6_S4_PS7_PNS_15floating_traitsIS7_E6data_tEPKSE_.private_seg_size, 0
	.set _ZN9rocsparseL16kernel_calculateILi1024ELi16ELb1EdiiEEvT4_T3_PKS2_S4_PKS1_PKT2_21rocsparse_index_base_S4_S4_S6_S4_S4_S6_S4_PS7_PNS_15floating_traitsIS7_E6data_tEPKSE_.uses_vcc, 1
	.set _ZN9rocsparseL16kernel_calculateILi1024ELi16ELb1EdiiEEvT4_T3_PKS2_S4_PKS1_PKT2_21rocsparse_index_base_S4_S4_S6_S4_S4_S6_S4_PS7_PNS_15floating_traitsIS7_E6data_tEPKSE_.uses_flat_scratch, 0
	.set _ZN9rocsparseL16kernel_calculateILi1024ELi16ELb1EdiiEEvT4_T3_PKS2_S4_PKS1_PKT2_21rocsparse_index_base_S4_S4_S6_S4_S4_S6_S4_PS7_PNS_15floating_traitsIS7_E6data_tEPKSE_.has_dyn_sized_stack, 0
	.set _ZN9rocsparseL16kernel_calculateILi1024ELi16ELb1EdiiEEvT4_T3_PKS2_S4_PKS1_PKT2_21rocsparse_index_base_S4_S4_S6_S4_S4_S6_S4_PS7_PNS_15floating_traitsIS7_E6data_tEPKSE_.has_recursion, 0
	.set _ZN9rocsparseL16kernel_calculateILi1024ELi16ELb1EdiiEEvT4_T3_PKS2_S4_PKS1_PKT2_21rocsparse_index_base_S4_S4_S6_S4_S4_S6_S4_PS7_PNS_15floating_traitsIS7_E6data_tEPKSE_.has_indirect_call, 0
	.section	.AMDGPU.csdata,"",@progbits
; Kernel info:
; codeLenInByte = 2044
; TotalNumSgprs: 64
; NumVgprs: 32
; NumAgprs: 0
; TotalNumVgprs: 32
; ScratchSize: 0
; MemoryBound: 1
; FloatMode: 240
; IeeeMode: 1
; LDSByteSize: 512 bytes/workgroup (compile time only)
; SGPRBlocks: 7
; VGPRBlocks: 3
; NumSGPRsForWavesPerEU: 64
; NumVGPRsForWavesPerEU: 32
; AccumOffset: 32
; Occupancy: 8
; WaveLimiterHint : 1
; COMPUTE_PGM_RSRC2:SCRATCH_EN: 0
; COMPUTE_PGM_RSRC2:USER_SGPR: 2
; COMPUTE_PGM_RSRC2:TRAP_HANDLER: 0
; COMPUTE_PGM_RSRC2:TGID_X_EN: 1
; COMPUTE_PGM_RSRC2:TGID_Y_EN: 0
; COMPUTE_PGM_RSRC2:TGID_Z_EN: 0
; COMPUTE_PGM_RSRC2:TIDIG_COMP_CNT: 0
; COMPUTE_PGM_RSRC3_GFX90A:ACCUM_OFFSET: 7
; COMPUTE_PGM_RSRC3_GFX90A:TG_SPLIT: 0
	.section	.text._ZN9rocsparseL16kernel_calculateILi1024ELi32ELb1EdiiEEvT4_T3_PKS2_S4_PKS1_PKT2_21rocsparse_index_base_S4_S4_S6_S4_S4_S6_S4_PS7_PNS_15floating_traitsIS7_E6data_tEPKSE_,"axG",@progbits,_ZN9rocsparseL16kernel_calculateILi1024ELi32ELb1EdiiEEvT4_T3_PKS2_S4_PKS1_PKT2_21rocsparse_index_base_S4_S4_S6_S4_S4_S6_S4_PS7_PNS_15floating_traitsIS7_E6data_tEPKSE_,comdat
	.globl	_ZN9rocsparseL16kernel_calculateILi1024ELi32ELb1EdiiEEvT4_T3_PKS2_S4_PKS1_PKT2_21rocsparse_index_base_S4_S4_S6_S4_S4_S6_S4_PS7_PNS_15floating_traitsIS7_E6data_tEPKSE_ ; -- Begin function _ZN9rocsparseL16kernel_calculateILi1024ELi32ELb1EdiiEEvT4_T3_PKS2_S4_PKS1_PKT2_21rocsparse_index_base_S4_S4_S6_S4_S4_S6_S4_PS7_PNS_15floating_traitsIS7_E6data_tEPKSE_
	.p2align	8
	.type	_ZN9rocsparseL16kernel_calculateILi1024ELi32ELb1EdiiEEvT4_T3_PKS2_S4_PKS1_PKT2_21rocsparse_index_base_S4_S4_S6_S4_S4_S6_S4_PS7_PNS_15floating_traitsIS7_E6data_tEPKSE_,@function
_ZN9rocsparseL16kernel_calculateILi1024ELi32ELb1EdiiEEvT4_T3_PKS2_S4_PKS1_PKT2_21rocsparse_index_base_S4_S4_S6_S4_S4_S6_S4_PS7_PNS_15floating_traitsIS7_E6data_tEPKSE_: ; @_ZN9rocsparseL16kernel_calculateILi1024ELi32ELb1EdiiEEvT4_T3_PKS2_S4_PKS1_PKT2_21rocsparse_index_base_S4_S4_S6_S4_S4_S6_S4_PS7_PNS_15floating_traitsIS7_E6data_tEPKSE_
; %bb.0:
	s_load_dword s33, s[0:1], 0x0
	v_lshrrev_b32_e32 v1, 5, v0
	v_lshl_or_b32 v27, s2, 10, v1
	v_and_b32_e32 v26, 31, v0
	v_mov_b64_e32 v[2:3], 0
	s_waitcnt lgkmcnt(0)
	v_cmp_gt_i32_e32 vcc, s33, v27
	s_and_saveexec_b64 s[6:7], vcc
	s_cbranch_execz .LBB25_33
; %bb.1:
	s_load_dword s52, s[0:1], 0x28
	s_load_dwordx8 s[8:15], s[0:1], 0x50
	s_load_dwordx8 s[16:23], s[0:1], 0x30
	;; [unrolled: 1-line block ×3, first 2 shown]
	s_mov_b32 s34, 0
	v_mov_b64_e32 v[2:3], 0
	s_waitcnt lgkmcnt(0)
	v_subrev_u32_e32 v28, s52, v26
	s_mov_b32 s53, 0
	s_movk_i32 s54, 0x1f8
	s_mov_b32 s35, 0x7ff00000
	s_branch .LBB25_5
.LBB25_2:                               ;   in Loop: Header=BB25_5 Depth=1
	s_or_b64 exec, exec, s[40:41]
.LBB25_3:                               ;   in Loop: Header=BB25_5 Depth=1
	s_or_b64 exec, exec, s[38:39]
.LBB25_4:                               ;   in Loop: Header=BB25_5 Depth=1
	s_or_b64 exec, exec, s[36:37]
	s_add_i32 s53, s53, 1
	s_cmp_lg_u32 s53, 32
	s_cbranch_scc0 .LBB25_33
.LBB25_5:                               ; =>This Loop Header: Depth=1
                                        ;     Child Loop BB25_9 Depth 2
                                        ;       Child Loop BB25_12 Depth 3
                                        ;       Child Loop BB25_18 Depth 3
	;; [unrolled: 1-line block ×3, first 2 shown]
	v_lshl_add_u32 v4, s53, 5, v27
	v_cmp_gt_i32_e32 vcc, s33, v4
	s_and_saveexec_b64 s[36:37], vcc
	s_cbranch_execz .LBB25_4
; %bb.6:                                ;   in Loop: Header=BB25_5 Depth=1
	v_ashrrev_i32_e32 v5, 31, v4
	v_lshlrev_b64 v[8:9], 2, v[4:5]
	v_lshl_add_u64 v[6:7], s[26:27], 0, v[8:9]
	global_load_dword v5, v[6:7], off
	v_lshl_add_u64 v[6:7], s[24:25], 0, v[8:9]
	global_load_dword v6, v[6:7], off
	s_waitcnt vmcnt(1)
	v_subrev_u32_e32 v5, s52, v5
	s_waitcnt vmcnt(0)
	v_add_u32_e32 v6, v28, v6
	v_cmp_lt_i32_e32 vcc, v6, v5
	s_and_saveexec_b64 s[38:39], vcc
	s_cbranch_execz .LBB25_3
; %bb.7:                                ;   in Loop: Header=BB25_5 Depth=1
	v_lshl_add_u64 v[10:11], s[18:19], 0, v[8:9]
	v_lshl_add_u64 v[8:9], s[16:17], 0, v[8:9]
	global_load_dword v7, v[10:11], off
	s_mov_b64 s[40:41], 0
	global_load_dword v8, v[8:9], off
	s_waitcnt vmcnt(1)
	v_subrev_u32_e32 v29, s52, v7
	s_waitcnt vmcnt(0)
	v_subrev_u32_e32 v30, s52, v8
	v_cmp_lt_i32_e64 s[2:3], v8, v7
	s_branch .LBB25_9
.LBB25_8:                               ;   in Loop: Header=BB25_9 Depth=2
	s_or_b64 exec, exec, s[4:5]
	v_add_f64 v[10:11], v[10:11], v[18:19]
	v_cmp_eq_u32_e32 vcc, v4, v8
	v_add_u32_e32 v6, 32, v6
	s_nop 0
	v_cndmask_b32_e32 v9, v19, v11, vcc
	v_cndmask_b32_e32 v8, v18, v10, vcc
	v_cmp_nlg_f64_e64 s[4:5], |v[8:9]|, s[34:35]
	v_cmp_gt_f64_e64 s[42:43], v[2:3], |v[8:9]|
	v_and_b32_e32 v7, 0x7fffffff, v9
	s_or_b64 vcc, s[4:5], s[42:43]
	v_cmp_ge_i32_e64 s[4:5], v6, v5
	v_cndmask_b32_e32 v3, v7, v3, vcc
	s_or_b64 s[40:41], s[4:5], s[40:41]
	v_cndmask_b32_e32 v2, v8, v2, vcc
	s_andn2_b64 exec, exec, s[40:41]
	s_cbranch_execz .LBB25_2
.LBB25_9:                               ;   Parent Loop BB25_5 Depth=1
                                        ; =>  This Loop Header: Depth=2
                                        ;       Child Loop BB25_12 Depth 3
                                        ;       Child Loop BB25_18 Depth 3
	;; [unrolled: 1-line block ×3, first 2 shown]
	v_ashrrev_i32_e32 v7, 31, v6
	v_lshl_add_u64 v[8:9], v[6:7], 2, s[28:29]
	global_load_dword v31, v[8:9], off
	v_lshl_add_u64 v[14:15], v[6:7], 3, s[30:31]
	s_waitcnt vmcnt(0)
	v_subrev_u32_e32 v8, s52, v31
	v_ashrrev_i32_e32 v9, 31, v8
	v_lshlrev_b64 v[10:11], 2, v[8:9]
	v_lshl_add_u64 v[12:13], s[18:19], 0, v[10:11]
	global_load_dword v9, v[12:13], off
	v_lshl_add_u64 v[12:13], s[8:9], 0, v[10:11]
	v_lshl_add_u64 v[10:11], s[22:23], 0, v[10:11]
	global_load_dword v16, v[12:13], off
	global_load_dword v17, v[10:11], off
	s_nop 0
	global_load_dwordx2 v[12:13], v[14:15], off
	v_mov_b64_e32 v[14:15], 0
	s_waitcnt vmcnt(3)
	v_subrev_u32_e32 v10, s52, v9
	v_ashrrev_i32_e32 v11, 31, v10
	v_lshl_add_u64 v[10:11], v[10:11], 3, s[14:15]
	global_load_dwordx2 v[10:11], v[10:11], off
	s_waitcnt vmcnt(2)
	v_cmp_lt_i32_e32 vcc, v17, v16
	v_subrev_u32_e32 v9, s52, v16
	v_subrev_u32_e32 v20, s52, v17
	s_and_b64 s[4:5], s[2:3], vcc
	v_mov_b32_e32 v16, v30
	s_and_saveexec_b64 s[42:43], s[4:5]
	s_cbranch_execz .LBB25_15
; %bb.10:                               ;   in Loop: Header=BB25_9 Depth=2
	v_mov_b64_e32 v[14:15], 0
	s_mov_b64 s[44:45], 0
	v_mov_b32_e32 v16, v30
	s_branch .LBB25_12
.LBB25_11:                              ;   in Loop: Header=BB25_12 Depth=3
	s_or_b64 exec, exec, s[4:5]
	v_cmp_le_i32_e32 vcc, v18, v19
	s_nop 1
	v_addc_co_u32_e32 v16, vcc, 0, v16, vcc
	v_cmp_ge_i32_e32 vcc, v18, v19
	s_nop 1
	v_addc_co_u32_e32 v20, vcc, 0, v20, vcc
	v_cmp_ge_i32_e32 vcc, v16, v29
	v_cmp_ge_i32_e64 s[4:5], v20, v9
	s_or_b64 s[4:5], vcc, s[4:5]
	s_and_b64 s[4:5], exec, s[4:5]
	s_or_b64 s[44:45], s[4:5], s[44:45]
	s_andn2_b64 exec, exec, s[44:45]
	s_cbranch_execz .LBB25_14
.LBB25_12:                              ;   Parent Loop BB25_5 Depth=1
                                        ;     Parent Loop BB25_9 Depth=2
                                        ; =>    This Inner Loop Header: Depth=3
	v_ashrrev_i32_e32 v17, 31, v16
	v_ashrrev_i32_e32 v21, 31, v20
	v_lshl_add_u64 v[18:19], v[16:17], 2, s[20:21]
	v_lshl_add_u64 v[22:23], v[20:21], 2, s[10:11]
	global_load_dword v18, v[18:19], off
	s_nop 0
	global_load_dword v19, v[22:23], off
	s_waitcnt vmcnt(0)
	v_cmp_eq_u32_e32 vcc, v18, v19
	s_and_saveexec_b64 s[4:5], vcc
	s_cbranch_execz .LBB25_11
; %bb.13:                               ;   in Loop: Header=BB25_12 Depth=3
	v_lshl_add_u64 v[22:23], v[20:21], 2, s[12:13]
	global_load_dword v22, v[22:23], off
	v_lshl_add_u64 v[24:25], v[16:17], 3, s[14:15]
	global_load_dwordx2 v[24:25], v[24:25], off
	s_waitcnt vmcnt(1)
	v_ashrrev_i32_e32 v23, 31, v22
	v_lshl_add_u64 v[22:23], v[22:23], 3, s[14:15]
	global_load_dwordx2 v[22:23], v[22:23], off
	s_waitcnt vmcnt(0)
	v_fmac_f64_e32 v[14:15], v[24:25], v[22:23]
	s_branch .LBB25_11
.LBB25_14:                              ;   in Loop: Header=BB25_9 Depth=2
	s_or_b64 exec, exec, s[44:45]
.LBB25_15:                              ;   in Loop: Header=BB25_9 Depth=2
	s_or_b64 exec, exec, s[42:43]
	s_waitcnt vmcnt(1)
	v_add_f64 v[18:19], v[14:15], -v[12:13]
	v_cmp_lt_i32_e32 vcc, v20, v9
	s_and_saveexec_b64 s[4:5], vcc
	s_cbranch_execz .LBB25_23
; %bb.16:                               ;   in Loop: Header=BB25_9 Depth=2
	v_ashrrev_i32_e32 v21, 31, v20
	v_lshl_add_u64 v[22:23], v[20:21], 2, s[10:11]
	s_mov_b64 s[42:43], 0
                                        ; implicit-def: $sgpr44_sgpr45
                                        ; implicit-def: $sgpr48_sgpr49
                                        ; implicit-def: $sgpr46_sgpr47
	s_branch .LBB25_18
.LBB25_17:                              ;   in Loop: Header=BB25_18 Depth=3
	s_or_b64 exec, exec, s[50:51]
	s_and_b64 s[50:51], exec, s[48:49]
	s_or_b64 s[42:43], s[50:51], s[42:43]
	s_andn2_b64 s[44:45], s[44:45], exec
	s_and_b64 s[50:51], s[46:47], exec
	s_or_b64 s[44:45], s[44:45], s[50:51]
	s_andn2_b64 exec, exec, s[42:43]
	s_cbranch_execz .LBB25_20
.LBB25_18:                              ;   Parent Loop BB25_5 Depth=1
                                        ;     Parent Loop BB25_9 Depth=2
                                        ; =>    This Inner Loop Header: Depth=3
	global_load_dword v17, v[22:23], off
	v_mov_b64_e32 v[24:25], v[20:21]
	s_or_b64 s[46:47], s[46:47], exec
	s_or_b64 s[48:49], s[48:49], exec
                                        ; implicit-def: $vgpr20_vgpr21
	s_waitcnt vmcnt(0)
	v_subrev_u32_e32 v17, s52, v17
	v_cmp_ne_u32_e32 vcc, v17, v4
	s_and_saveexec_b64 s[50:51], vcc
	s_cbranch_execz .LBB25_17
; %bb.19:                               ;   in Loop: Header=BB25_18 Depth=3
	v_lshl_add_u64 v[20:21], v[24:25], 0, 1
	v_cmp_ge_i32_e32 vcc, v20, v9
	s_andn2_b64 s[48:49], s[48:49], exec
	s_and_b64 s[56:57], vcc, exec
	v_lshl_add_u64 v[22:23], v[22:23], 0, 4
	s_andn2_b64 s[46:47], s[46:47], exec
	s_or_b64 s[48:49], s[48:49], s[56:57]
	s_branch .LBB25_17
.LBB25_20:                              ;   in Loop: Header=BB25_9 Depth=2
	s_or_b64 exec, exec, s[42:43]
	s_and_saveexec_b64 s[42:43], s[44:45]
	s_xor_b64 s[42:43], exec, s[42:43]
	s_cbranch_execz .LBB25_22
; %bb.21:                               ;   in Loop: Header=BB25_9 Depth=2
	v_lshl_add_u64 v[20:21], v[24:25], 2, s[12:13]
	global_load_dword v20, v[20:21], off
	s_waitcnt vmcnt(0)
	v_ashrrev_i32_e32 v21, 31, v20
	v_lshl_add_u64 v[20:21], v[20:21], 3, s[14:15]
	global_load_dwordx2 v[20:21], v[20:21], off
	s_waitcnt vmcnt(0)
	v_add_f64 v[18:19], v[18:19], v[20:21]
.LBB25_22:                              ;   in Loop: Header=BB25_9 Depth=2
	s_or_b64 exec, exec, s[42:43]
.LBB25_23:                              ;   in Loop: Header=BB25_9 Depth=2
	s_or_b64 exec, exec, s[4:5]
	v_cmp_lt_i32_e32 vcc, v16, v29
	s_and_saveexec_b64 s[4:5], vcc
	s_cbranch_execz .LBB25_31
; %bb.24:                               ;   in Loop: Header=BB25_9 Depth=2
	v_ashrrev_i32_e32 v17, 31, v16
	v_lshl_add_u64 v[20:21], v[16:17], 2, s[20:21]
	s_mov_b64 s[42:43], 0
                                        ; implicit-def: $sgpr44_sgpr45
                                        ; implicit-def: $sgpr48_sgpr49
                                        ; implicit-def: $sgpr46_sgpr47
	s_branch .LBB25_26
.LBB25_25:                              ;   in Loop: Header=BB25_26 Depth=3
	s_or_b64 exec, exec, s[50:51]
	s_and_b64 s[50:51], exec, s[48:49]
	s_or_b64 s[42:43], s[50:51], s[42:43]
	s_andn2_b64 s[44:45], s[44:45], exec
	s_and_b64 s[50:51], s[46:47], exec
	s_or_b64 s[44:45], s[44:45], s[50:51]
	s_andn2_b64 exec, exec, s[42:43]
	s_cbranch_execz .LBB25_28
.LBB25_26:                              ;   Parent Loop BB25_5 Depth=1
                                        ;     Parent Loop BB25_9 Depth=2
                                        ; =>    This Inner Loop Header: Depth=3
	global_load_dword v9, v[20:21], off
	v_mov_b64_e32 v[22:23], v[16:17]
	s_or_b64 s[46:47], s[46:47], exec
	s_or_b64 s[48:49], s[48:49], exec
                                        ; implicit-def: $vgpr16_vgpr17
	s_waitcnt vmcnt(0)
	v_cmp_ne_u32_e32 vcc, v9, v31
	s_and_saveexec_b64 s[50:51], vcc
	s_cbranch_execz .LBB25_25
; %bb.27:                               ;   in Loop: Header=BB25_26 Depth=3
	v_lshl_add_u64 v[16:17], v[22:23], 0, 1
	v_cmp_ge_i32_e32 vcc, v16, v29
	s_andn2_b64 s[48:49], s[48:49], exec
	s_and_b64 s[56:57], vcc, exec
	v_lshl_add_u64 v[20:21], v[20:21], 0, 4
	s_andn2_b64 s[46:47], s[46:47], exec
	s_or_b64 s[48:49], s[48:49], s[56:57]
	s_branch .LBB25_25
.LBB25_28:                              ;   in Loop: Header=BB25_9 Depth=2
	s_or_b64 exec, exec, s[42:43]
	s_and_saveexec_b64 s[42:43], s[44:45]
	s_xor_b64 s[42:43], exec, s[42:43]
	s_cbranch_execz .LBB25_30
; %bb.29:                               ;   in Loop: Header=BB25_9 Depth=2
	v_lshl_add_u64 v[16:17], v[22:23], 3, s[14:15]
	global_load_dwordx2 v[16:17], v[16:17], off
	s_waitcnt vmcnt(0)
	v_fmac_f64_e32 v[18:19], v[16:17], v[10:11]
.LBB25_30:                              ;   in Loop: Header=BB25_9 Depth=2
	s_or_b64 exec, exec, s[42:43]
.LBB25_31:                              ;   in Loop: Header=BB25_9 Depth=2
	s_or_b64 exec, exec, s[4:5]
	v_add_f64 v[12:13], v[12:13], -v[14:15]
	s_waitcnt vmcnt(0)
	v_div_scale_f64 v[14:15], s[4:5], v[10:11], v[10:11], v[12:13]
	v_rcp_f64_e32 v[16:17], v[14:15]
	v_div_scale_f64 v[20:21], vcc, v[12:13], v[10:11], v[12:13]
	v_fma_f64 v[22:23], -v[14:15], v[16:17], 1.0
	v_fmac_f64_e32 v[16:17], v[16:17], v[22:23]
	v_fma_f64 v[22:23], -v[14:15], v[16:17], 1.0
	v_fmac_f64_e32 v[16:17], v[16:17], v[22:23]
	v_mul_f64 v[22:23], v[20:21], v[16:17]
	v_fma_f64 v[14:15], -v[14:15], v[22:23], v[20:21]
	v_div_fmas_f64 v[14:15], v[14:15], v[16:17], v[22:23]
	v_div_fixup_f64 v[14:15], v[14:15], v[10:11], v[12:13]
	v_cmp_gt_i32_e32 vcc, v4, v8
	s_nop 1
	v_cndmask_b32_e32 v13, v13, v15, vcc
	v_cndmask_b32_e32 v12, v12, v14, vcc
	v_cmp_class_f64_e64 s[42:43], v[12:13], s54
	s_and_saveexec_b64 s[4:5], s[42:43]
	s_cbranch_execz .LBB25_8
; %bb.32:                               ;   in Loop: Header=BB25_9 Depth=2
	v_lshl_add_u64 v[14:15], v[6:7], 3, s[14:15]
	global_store_dwordx2 v[14:15], v[12:13], off
	s_branch .LBB25_8
.LBB25_33:
	s_or_b64 exec, exec, s[6:7]
	v_mov_b32_dpp v4, v2 row_shr:1 row_mask:0xf bank_mask:0xf
	v_mov_b32_dpp v5, v3 row_shr:1 row_mask:0xf bank_mask:0xf
	v_cmp_lt_f64_e32 vcc, v[2:3], v[4:5]
	s_nop 1
	v_cndmask_b32_e32 v3, v3, v5, vcc
	v_cndmask_b32_e32 v2, v2, v4, vcc
	s_nop 0
	v_mov_b32_dpp v5, v3 row_shr:2 row_mask:0xf bank_mask:0xf
	v_mov_b32_dpp v4, v2 row_shr:2 row_mask:0xf bank_mask:0xf
	v_cmp_lt_f64_e32 vcc, v[2:3], v[4:5]
	s_nop 1
	v_cndmask_b32_e32 v3, v3, v5, vcc
	v_cndmask_b32_e32 v2, v2, v4, vcc
	s_nop 0
	;; [unrolled: 7-line block ×3, first 2 shown]
	v_mov_b32_dpp v5, v3 row_shr:8 row_mask:0xf bank_mask:0xc
	v_mov_b32_dpp v4, v2 row_shr:8 row_mask:0xf bank_mask:0xc
	v_cmp_lt_f64_e32 vcc, v[2:3], v[4:5]
	s_nop 1
	v_cndmask_b32_e32 v3, v3, v5, vcc
	v_cndmask_b32_e32 v2, v2, v4, vcc
	v_cmp_eq_u32_e32 vcc, 31, v26
	v_mov_b32_dpp v6, v3 row_bcast:15 row_mask:0xa bank_mask:0xf
	v_mov_b32_dpp v4, v2 row_bcast:15 row_mask:0xa bank_mask:0xf
	s_and_saveexec_b64 s[2:3], vcc
	s_cbranch_execz .LBB25_35
; %bb.34:
	v_mov_b32_e32 v5, v6
	v_cmp_lt_f64_e32 vcc, v[2:3], v[4:5]
	v_lshlrev_b32_e32 v1, 3, v1
	s_nop 0
	v_cndmask_b32_e32 v3, v3, v6, vcc
	v_cndmask_b32_e32 v2, v2, v4, vcc
	ds_write_b64 v1, v[2:3]
.LBB25_35:
	s_or_b64 exec, exec, s[2:3]
	v_cmp_gt_u32_e32 vcc, 16, v0
	v_lshlrev_b32_e32 v1, 3, v0
	s_waitcnt lgkmcnt(0)
	s_barrier
	s_and_saveexec_b64 s[2:3], vcc
	s_cbranch_execz .LBB25_37
; %bb.36:
	ds_read2_b64 v[2:5], v1 offset1:16
	s_waitcnt lgkmcnt(0)
	v_cmp_lt_f64_e32 vcc, v[2:3], v[4:5]
	s_nop 1
	v_cndmask_b32_e32 v3, v3, v5, vcc
	v_cndmask_b32_e32 v2, v2, v4, vcc
	ds_write_b64 v1, v[2:3]
.LBB25_37:
	s_or_b64 exec, exec, s[2:3]
	v_cmp_gt_u32_e32 vcc, 8, v0
	s_waitcnt lgkmcnt(0)
	s_barrier
	s_and_saveexec_b64 s[2:3], vcc
	s_cbranch_execz .LBB25_39
; %bb.38:
	ds_read2_b64 v[2:5], v1 offset1:8
	s_waitcnt lgkmcnt(0)
	v_cmp_lt_f64_e32 vcc, v[2:3], v[4:5]
	s_nop 1
	v_cndmask_b32_e32 v3, v3, v5, vcc
	v_cndmask_b32_e32 v2, v2, v4, vcc
	ds_write_b64 v1, v[2:3]
.LBB25_39:
	s_or_b64 exec, exec, s[2:3]
	v_cmp_gt_u32_e32 vcc, 4, v0
	;; [unrolled: 15-line block ×3, first 2 shown]
	s_waitcnt lgkmcnt(0)
	s_barrier
	s_and_saveexec_b64 s[2:3], vcc
	s_cbranch_execz .LBB25_43
; %bb.42:
	ds_read2_b64 v[2:5], v1 offset1:2
	s_waitcnt lgkmcnt(0)
	v_cmp_lt_f64_e32 vcc, v[2:3], v[4:5]
	s_nop 1
	v_cndmask_b32_e32 v3, v3, v5, vcc
	v_cndmask_b32_e32 v2, v2, v4, vcc
	ds_write_b64 v1, v[2:3]
.LBB25_43:
	s_or_b64 exec, exec, s[2:3]
	v_cmp_eq_u32_e32 vcc, 0, v0
	s_waitcnt lgkmcnt(0)
	s_barrier
	s_and_saveexec_b64 s[4:5], vcc
	s_cbranch_execz .LBB25_45
; %bb.44:
	v_mov_b32_e32 v4, 0
	ds_read_b128 v[0:3], v4
	s_waitcnt lgkmcnt(0)
	v_cmp_lt_f64_e64 s[2:3], v[0:1], v[2:3]
	s_nop 1
	v_cndmask_b32_e64 v1, v1, v3, s[2:3]
	v_cndmask_b32_e64 v0, v0, v2, s[2:3]
	ds_write_b64 v4, v[0:1]
.LBB25_45:
	s_or_b64 exec, exec, s[4:5]
	s_waitcnt lgkmcnt(0)
	s_barrier
	s_and_saveexec_b64 s[2:3], vcc
	s_cbranch_execz .LBB25_48
; %bb.46:
	v_mbcnt_lo_u32_b32 v0, exec_lo, 0
	v_mbcnt_hi_u32_b32 v0, exec_hi, v0
	v_cmp_eq_u32_e32 vcc, 0, v0
	s_and_b64 exec, exec, vcc
	s_cbranch_execz .LBB25_48
; %bb.47:
	s_load_dwordx4 s[0:3], s[0:1], 0x70
	v_mov_b32_e32 v10, 0
	ds_read_b64 v[0:1], v10
	s_waitcnt lgkmcnt(0)
	s_load_dwordx2 s[2:3], s[2:3], 0x0
	s_waitcnt lgkmcnt(0)
	v_div_scale_f64 v[2:3], s[4:5], s[2:3], s[2:3], v[0:1]
	v_rcp_f64_e32 v[4:5], v[2:3]
	v_div_scale_f64 v[6:7], vcc, v[0:1], s[2:3], v[0:1]
	v_fma_f64 v[8:9], -v[2:3], v[4:5], 1.0
	v_fmac_f64_e32 v[4:5], v[4:5], v[8:9]
	v_fma_f64 v[8:9], -v[2:3], v[4:5], 1.0
	v_fmac_f64_e32 v[4:5], v[4:5], v[8:9]
	v_mul_f64 v[8:9], v[6:7], v[4:5]
	v_fma_f64 v[2:3], -v[2:3], v[8:9], v[6:7]
	v_div_fmas_f64 v[2:3], v[2:3], v[4:5], v[8:9]
	v_div_fixup_f64 v[0:1], v[2:3], s[2:3], v[0:1]
	global_atomic_max_f64 v10, v[0:1], s[0:1]
.LBB25_48:
	s_endpgm
	.section	.rodata,"a",@progbits
	.p2align	6, 0x0
	.amdhsa_kernel _ZN9rocsparseL16kernel_calculateILi1024ELi32ELb1EdiiEEvT4_T3_PKS2_S4_PKS1_PKT2_21rocsparse_index_base_S4_S4_S6_S4_S4_S6_S4_PS7_PNS_15floating_traitsIS7_E6data_tEPKSE_
		.amdhsa_group_segment_fixed_size 256
		.amdhsa_private_segment_fixed_size 0
		.amdhsa_kernarg_size 128
		.amdhsa_user_sgpr_count 2
		.amdhsa_user_sgpr_dispatch_ptr 0
		.amdhsa_user_sgpr_queue_ptr 0
		.amdhsa_user_sgpr_kernarg_segment_ptr 1
		.amdhsa_user_sgpr_dispatch_id 0
		.amdhsa_user_sgpr_kernarg_preload_length 0
		.amdhsa_user_sgpr_kernarg_preload_offset 0
		.amdhsa_user_sgpr_private_segment_size 0
		.amdhsa_uses_dynamic_stack 0
		.amdhsa_enable_private_segment 0
		.amdhsa_system_sgpr_workgroup_id_x 1
		.amdhsa_system_sgpr_workgroup_id_y 0
		.amdhsa_system_sgpr_workgroup_id_z 0
		.amdhsa_system_sgpr_workgroup_info 0
		.amdhsa_system_vgpr_workitem_id 0
		.amdhsa_next_free_vgpr 32
		.amdhsa_next_free_sgpr 58
		.amdhsa_accum_offset 32
		.amdhsa_reserve_vcc 1
		.amdhsa_float_round_mode_32 0
		.amdhsa_float_round_mode_16_64 0
		.amdhsa_float_denorm_mode_32 3
		.amdhsa_float_denorm_mode_16_64 3
		.amdhsa_dx10_clamp 1
		.amdhsa_ieee_mode 1
		.amdhsa_fp16_overflow 0
		.amdhsa_tg_split 0
		.amdhsa_exception_fp_ieee_invalid_op 0
		.amdhsa_exception_fp_denorm_src 0
		.amdhsa_exception_fp_ieee_div_zero 0
		.amdhsa_exception_fp_ieee_overflow 0
		.amdhsa_exception_fp_ieee_underflow 0
		.amdhsa_exception_fp_ieee_inexact 0
		.amdhsa_exception_int_div_zero 0
	.end_amdhsa_kernel
	.section	.text._ZN9rocsparseL16kernel_calculateILi1024ELi32ELb1EdiiEEvT4_T3_PKS2_S4_PKS1_PKT2_21rocsparse_index_base_S4_S4_S6_S4_S4_S6_S4_PS7_PNS_15floating_traitsIS7_E6data_tEPKSE_,"axG",@progbits,_ZN9rocsparseL16kernel_calculateILi1024ELi32ELb1EdiiEEvT4_T3_PKS2_S4_PKS1_PKT2_21rocsparse_index_base_S4_S4_S6_S4_S4_S6_S4_PS7_PNS_15floating_traitsIS7_E6data_tEPKSE_,comdat
.Lfunc_end25:
	.size	_ZN9rocsparseL16kernel_calculateILi1024ELi32ELb1EdiiEEvT4_T3_PKS2_S4_PKS1_PKT2_21rocsparse_index_base_S4_S4_S6_S4_S4_S6_S4_PS7_PNS_15floating_traitsIS7_E6data_tEPKSE_, .Lfunc_end25-_ZN9rocsparseL16kernel_calculateILi1024ELi32ELb1EdiiEEvT4_T3_PKS2_S4_PKS1_PKT2_21rocsparse_index_base_S4_S4_S6_S4_S4_S6_S4_PS7_PNS_15floating_traitsIS7_E6data_tEPKSE_
                                        ; -- End function
	.set _ZN9rocsparseL16kernel_calculateILi1024ELi32ELb1EdiiEEvT4_T3_PKS2_S4_PKS1_PKT2_21rocsparse_index_base_S4_S4_S6_S4_S4_S6_S4_PS7_PNS_15floating_traitsIS7_E6data_tEPKSE_.num_vgpr, 32
	.set _ZN9rocsparseL16kernel_calculateILi1024ELi32ELb1EdiiEEvT4_T3_PKS2_S4_PKS1_PKT2_21rocsparse_index_base_S4_S4_S6_S4_S4_S6_S4_PS7_PNS_15floating_traitsIS7_E6data_tEPKSE_.num_agpr, 0
	.set _ZN9rocsparseL16kernel_calculateILi1024ELi32ELb1EdiiEEvT4_T3_PKS2_S4_PKS1_PKT2_21rocsparse_index_base_S4_S4_S6_S4_S4_S6_S4_PS7_PNS_15floating_traitsIS7_E6data_tEPKSE_.numbered_sgpr, 58
	.set _ZN9rocsparseL16kernel_calculateILi1024ELi32ELb1EdiiEEvT4_T3_PKS2_S4_PKS1_PKT2_21rocsparse_index_base_S4_S4_S6_S4_S4_S6_S4_PS7_PNS_15floating_traitsIS7_E6data_tEPKSE_.num_named_barrier, 0
	.set _ZN9rocsparseL16kernel_calculateILi1024ELi32ELb1EdiiEEvT4_T3_PKS2_S4_PKS1_PKT2_21rocsparse_index_base_S4_S4_S6_S4_S4_S6_S4_PS7_PNS_15floating_traitsIS7_E6data_tEPKSE_.private_seg_size, 0
	.set _ZN9rocsparseL16kernel_calculateILi1024ELi32ELb1EdiiEEvT4_T3_PKS2_S4_PKS1_PKT2_21rocsparse_index_base_S4_S4_S6_S4_S4_S6_S4_PS7_PNS_15floating_traitsIS7_E6data_tEPKSE_.uses_vcc, 1
	.set _ZN9rocsparseL16kernel_calculateILi1024ELi32ELb1EdiiEEvT4_T3_PKS2_S4_PKS1_PKT2_21rocsparse_index_base_S4_S4_S6_S4_S4_S6_S4_PS7_PNS_15floating_traitsIS7_E6data_tEPKSE_.uses_flat_scratch, 0
	.set _ZN9rocsparseL16kernel_calculateILi1024ELi32ELb1EdiiEEvT4_T3_PKS2_S4_PKS1_PKT2_21rocsparse_index_base_S4_S4_S6_S4_S4_S6_S4_PS7_PNS_15floating_traitsIS7_E6data_tEPKSE_.has_dyn_sized_stack, 0
	.set _ZN9rocsparseL16kernel_calculateILi1024ELi32ELb1EdiiEEvT4_T3_PKS2_S4_PKS1_PKT2_21rocsparse_index_base_S4_S4_S6_S4_S4_S6_S4_PS7_PNS_15floating_traitsIS7_E6data_tEPKSE_.has_recursion, 0
	.set _ZN9rocsparseL16kernel_calculateILi1024ELi32ELb1EdiiEEvT4_T3_PKS2_S4_PKS1_PKT2_21rocsparse_index_base_S4_S4_S6_S4_S4_S6_S4_PS7_PNS_15floating_traitsIS7_E6data_tEPKSE_.has_indirect_call, 0
	.section	.AMDGPU.csdata,"",@progbits
; Kernel info:
; codeLenInByte = 2020
; TotalNumSgprs: 64
; NumVgprs: 32
; NumAgprs: 0
; TotalNumVgprs: 32
; ScratchSize: 0
; MemoryBound: 1
; FloatMode: 240
; IeeeMode: 1
; LDSByteSize: 256 bytes/workgroup (compile time only)
; SGPRBlocks: 7
; VGPRBlocks: 3
; NumSGPRsForWavesPerEU: 64
; NumVGPRsForWavesPerEU: 32
; AccumOffset: 32
; Occupancy: 8
; WaveLimiterHint : 1
; COMPUTE_PGM_RSRC2:SCRATCH_EN: 0
; COMPUTE_PGM_RSRC2:USER_SGPR: 2
; COMPUTE_PGM_RSRC2:TRAP_HANDLER: 0
; COMPUTE_PGM_RSRC2:TGID_X_EN: 1
; COMPUTE_PGM_RSRC2:TGID_Y_EN: 0
; COMPUTE_PGM_RSRC2:TGID_Z_EN: 0
; COMPUTE_PGM_RSRC2:TIDIG_COMP_CNT: 0
; COMPUTE_PGM_RSRC3_GFX90A:ACCUM_OFFSET: 7
; COMPUTE_PGM_RSRC3_GFX90A:TG_SPLIT: 0
	.section	.text._ZN9rocsparseL16kernel_calculateILi1024ELi64ELb1EdiiEEvT4_T3_PKS2_S4_PKS1_PKT2_21rocsparse_index_base_S4_S4_S6_S4_S4_S6_S4_PS7_PNS_15floating_traitsIS7_E6data_tEPKSE_,"axG",@progbits,_ZN9rocsparseL16kernel_calculateILi1024ELi64ELb1EdiiEEvT4_T3_PKS2_S4_PKS1_PKT2_21rocsparse_index_base_S4_S4_S6_S4_S4_S6_S4_PS7_PNS_15floating_traitsIS7_E6data_tEPKSE_,comdat
	.globl	_ZN9rocsparseL16kernel_calculateILi1024ELi64ELb1EdiiEEvT4_T3_PKS2_S4_PKS1_PKT2_21rocsparse_index_base_S4_S4_S6_S4_S4_S6_S4_PS7_PNS_15floating_traitsIS7_E6data_tEPKSE_ ; -- Begin function _ZN9rocsparseL16kernel_calculateILi1024ELi64ELb1EdiiEEvT4_T3_PKS2_S4_PKS1_PKT2_21rocsparse_index_base_S4_S4_S6_S4_S4_S6_S4_PS7_PNS_15floating_traitsIS7_E6data_tEPKSE_
	.p2align	8
	.type	_ZN9rocsparseL16kernel_calculateILi1024ELi64ELb1EdiiEEvT4_T3_PKS2_S4_PKS1_PKT2_21rocsparse_index_base_S4_S4_S6_S4_S4_S6_S4_PS7_PNS_15floating_traitsIS7_E6data_tEPKSE_,@function
_ZN9rocsparseL16kernel_calculateILi1024ELi64ELb1EdiiEEvT4_T3_PKS2_S4_PKS1_PKT2_21rocsparse_index_base_S4_S4_S6_S4_S4_S6_S4_PS7_PNS_15floating_traitsIS7_E6data_tEPKSE_: ; @_ZN9rocsparseL16kernel_calculateILi1024ELi64ELb1EdiiEEvT4_T3_PKS2_S4_PKS1_PKT2_21rocsparse_index_base_S4_S4_S6_S4_S4_S6_S4_PS7_PNS_15floating_traitsIS7_E6data_tEPKSE_
; %bb.0:
	s_load_dword s33, s[0:1], 0x0
	v_lshrrev_b32_e32 v1, 6, v0
	v_lshl_or_b32 v27, s2, 10, v1
	v_and_b32_e32 v26, 63, v0
	v_mov_b64_e32 v[2:3], 0
	s_waitcnt lgkmcnt(0)
	v_cmp_gt_i32_e32 vcc, s33, v27
	s_and_saveexec_b64 s[6:7], vcc
	s_cbranch_execz .LBB26_33
; %bb.1:
	s_load_dword s52, s[0:1], 0x28
	s_load_dwordx8 s[8:15], s[0:1], 0x50
	s_load_dwordx8 s[16:23], s[0:1], 0x30
	;; [unrolled: 1-line block ×3, first 2 shown]
	s_mov_b32 s34, 0
	v_mov_b64_e32 v[2:3], 0
	s_waitcnt lgkmcnt(0)
	v_subrev_u32_e32 v28, s52, v26
	s_mov_b32 s53, 0
	s_movk_i32 s54, 0x1f8
	s_mov_b32 s35, 0x7ff00000
	s_branch .LBB26_5
.LBB26_2:                               ;   in Loop: Header=BB26_5 Depth=1
	s_or_b64 exec, exec, s[40:41]
.LBB26_3:                               ;   in Loop: Header=BB26_5 Depth=1
	s_or_b64 exec, exec, s[38:39]
.LBB26_4:                               ;   in Loop: Header=BB26_5 Depth=1
	s_or_b64 exec, exec, s[36:37]
	s_add_i32 s53, s53, 1
	s_cmp_lg_u32 s53, 64
	s_cbranch_scc0 .LBB26_33
.LBB26_5:                               ; =>This Loop Header: Depth=1
                                        ;     Child Loop BB26_9 Depth 2
                                        ;       Child Loop BB26_12 Depth 3
                                        ;       Child Loop BB26_18 Depth 3
	;; [unrolled: 1-line block ×3, first 2 shown]
	v_lshl_add_u32 v4, s53, 4, v27
	v_cmp_gt_i32_e32 vcc, s33, v4
	s_and_saveexec_b64 s[36:37], vcc
	s_cbranch_execz .LBB26_4
; %bb.6:                                ;   in Loop: Header=BB26_5 Depth=1
	v_ashrrev_i32_e32 v5, 31, v4
	v_lshlrev_b64 v[8:9], 2, v[4:5]
	v_lshl_add_u64 v[6:7], s[26:27], 0, v[8:9]
	global_load_dword v5, v[6:7], off
	v_lshl_add_u64 v[6:7], s[24:25], 0, v[8:9]
	global_load_dword v6, v[6:7], off
	s_waitcnt vmcnt(1)
	v_subrev_u32_e32 v5, s52, v5
	s_waitcnt vmcnt(0)
	v_add_u32_e32 v6, v28, v6
	v_cmp_lt_i32_e32 vcc, v6, v5
	s_and_saveexec_b64 s[38:39], vcc
	s_cbranch_execz .LBB26_3
; %bb.7:                                ;   in Loop: Header=BB26_5 Depth=1
	v_lshl_add_u64 v[10:11], s[18:19], 0, v[8:9]
	v_lshl_add_u64 v[8:9], s[16:17], 0, v[8:9]
	global_load_dword v7, v[10:11], off
	s_mov_b64 s[40:41], 0
	global_load_dword v8, v[8:9], off
	s_waitcnt vmcnt(1)
	v_subrev_u32_e32 v29, s52, v7
	s_waitcnt vmcnt(0)
	v_subrev_u32_e32 v30, s52, v8
	v_cmp_lt_i32_e64 s[2:3], v8, v7
	s_branch .LBB26_9
.LBB26_8:                               ;   in Loop: Header=BB26_9 Depth=2
	s_or_b64 exec, exec, s[4:5]
	v_add_f64 v[10:11], v[10:11], v[18:19]
	v_cmp_eq_u32_e32 vcc, v4, v8
	v_add_u32_e32 v6, 64, v6
	s_nop 0
	v_cndmask_b32_e32 v9, v19, v11, vcc
	v_cndmask_b32_e32 v8, v18, v10, vcc
	v_cmp_nlg_f64_e64 s[4:5], |v[8:9]|, s[34:35]
	v_cmp_gt_f64_e64 s[42:43], v[2:3], |v[8:9]|
	v_and_b32_e32 v7, 0x7fffffff, v9
	s_or_b64 vcc, s[4:5], s[42:43]
	v_cmp_ge_i32_e64 s[4:5], v6, v5
	v_cndmask_b32_e32 v3, v7, v3, vcc
	s_or_b64 s[40:41], s[4:5], s[40:41]
	v_cndmask_b32_e32 v2, v8, v2, vcc
	s_andn2_b64 exec, exec, s[40:41]
	s_cbranch_execz .LBB26_2
.LBB26_9:                               ;   Parent Loop BB26_5 Depth=1
                                        ; =>  This Loop Header: Depth=2
                                        ;       Child Loop BB26_12 Depth 3
                                        ;       Child Loop BB26_18 Depth 3
	;; [unrolled: 1-line block ×3, first 2 shown]
	v_ashrrev_i32_e32 v7, 31, v6
	v_lshl_add_u64 v[8:9], v[6:7], 2, s[28:29]
	global_load_dword v31, v[8:9], off
	v_lshl_add_u64 v[14:15], v[6:7], 3, s[30:31]
	s_waitcnt vmcnt(0)
	v_subrev_u32_e32 v8, s52, v31
	v_ashrrev_i32_e32 v9, 31, v8
	v_lshlrev_b64 v[10:11], 2, v[8:9]
	v_lshl_add_u64 v[12:13], s[18:19], 0, v[10:11]
	global_load_dword v9, v[12:13], off
	v_lshl_add_u64 v[12:13], s[8:9], 0, v[10:11]
	v_lshl_add_u64 v[10:11], s[22:23], 0, v[10:11]
	global_load_dword v16, v[12:13], off
	global_load_dword v17, v[10:11], off
	s_nop 0
	global_load_dwordx2 v[12:13], v[14:15], off
	v_mov_b64_e32 v[14:15], 0
	s_waitcnt vmcnt(3)
	v_subrev_u32_e32 v10, s52, v9
	v_ashrrev_i32_e32 v11, 31, v10
	v_lshl_add_u64 v[10:11], v[10:11], 3, s[14:15]
	global_load_dwordx2 v[10:11], v[10:11], off
	s_waitcnt vmcnt(2)
	v_cmp_lt_i32_e32 vcc, v17, v16
	v_subrev_u32_e32 v9, s52, v16
	v_subrev_u32_e32 v20, s52, v17
	s_and_b64 s[4:5], s[2:3], vcc
	v_mov_b32_e32 v16, v30
	s_and_saveexec_b64 s[42:43], s[4:5]
	s_cbranch_execz .LBB26_15
; %bb.10:                               ;   in Loop: Header=BB26_9 Depth=2
	v_mov_b64_e32 v[14:15], 0
	s_mov_b64 s[44:45], 0
	v_mov_b32_e32 v16, v30
	s_branch .LBB26_12
.LBB26_11:                              ;   in Loop: Header=BB26_12 Depth=3
	s_or_b64 exec, exec, s[4:5]
	v_cmp_le_i32_e32 vcc, v18, v19
	s_nop 1
	v_addc_co_u32_e32 v16, vcc, 0, v16, vcc
	v_cmp_ge_i32_e32 vcc, v18, v19
	s_nop 1
	v_addc_co_u32_e32 v20, vcc, 0, v20, vcc
	v_cmp_ge_i32_e32 vcc, v16, v29
	v_cmp_ge_i32_e64 s[4:5], v20, v9
	s_or_b64 s[4:5], vcc, s[4:5]
	s_and_b64 s[4:5], exec, s[4:5]
	s_or_b64 s[44:45], s[4:5], s[44:45]
	s_andn2_b64 exec, exec, s[44:45]
	s_cbranch_execz .LBB26_14
.LBB26_12:                              ;   Parent Loop BB26_5 Depth=1
                                        ;     Parent Loop BB26_9 Depth=2
                                        ; =>    This Inner Loop Header: Depth=3
	v_ashrrev_i32_e32 v17, 31, v16
	v_ashrrev_i32_e32 v21, 31, v20
	v_lshl_add_u64 v[18:19], v[16:17], 2, s[20:21]
	v_lshl_add_u64 v[22:23], v[20:21], 2, s[10:11]
	global_load_dword v18, v[18:19], off
	s_nop 0
	global_load_dword v19, v[22:23], off
	s_waitcnt vmcnt(0)
	v_cmp_eq_u32_e32 vcc, v18, v19
	s_and_saveexec_b64 s[4:5], vcc
	s_cbranch_execz .LBB26_11
; %bb.13:                               ;   in Loop: Header=BB26_12 Depth=3
	v_lshl_add_u64 v[22:23], v[20:21], 2, s[12:13]
	global_load_dword v22, v[22:23], off
	v_lshl_add_u64 v[24:25], v[16:17], 3, s[14:15]
	global_load_dwordx2 v[24:25], v[24:25], off
	s_waitcnt vmcnt(1)
	v_ashrrev_i32_e32 v23, 31, v22
	v_lshl_add_u64 v[22:23], v[22:23], 3, s[14:15]
	global_load_dwordx2 v[22:23], v[22:23], off
	s_waitcnt vmcnt(0)
	v_fmac_f64_e32 v[14:15], v[24:25], v[22:23]
	s_branch .LBB26_11
.LBB26_14:                              ;   in Loop: Header=BB26_9 Depth=2
	s_or_b64 exec, exec, s[44:45]
.LBB26_15:                              ;   in Loop: Header=BB26_9 Depth=2
	s_or_b64 exec, exec, s[42:43]
	s_waitcnt vmcnt(1)
	v_add_f64 v[18:19], v[14:15], -v[12:13]
	v_cmp_lt_i32_e32 vcc, v20, v9
	s_and_saveexec_b64 s[4:5], vcc
	s_cbranch_execz .LBB26_23
; %bb.16:                               ;   in Loop: Header=BB26_9 Depth=2
	v_ashrrev_i32_e32 v21, 31, v20
	v_lshl_add_u64 v[22:23], v[20:21], 2, s[10:11]
	s_mov_b64 s[42:43], 0
                                        ; implicit-def: $sgpr44_sgpr45
                                        ; implicit-def: $sgpr48_sgpr49
                                        ; implicit-def: $sgpr46_sgpr47
	s_branch .LBB26_18
.LBB26_17:                              ;   in Loop: Header=BB26_18 Depth=3
	s_or_b64 exec, exec, s[50:51]
	s_and_b64 s[50:51], exec, s[48:49]
	s_or_b64 s[42:43], s[50:51], s[42:43]
	s_andn2_b64 s[44:45], s[44:45], exec
	s_and_b64 s[50:51], s[46:47], exec
	s_or_b64 s[44:45], s[44:45], s[50:51]
	s_andn2_b64 exec, exec, s[42:43]
	s_cbranch_execz .LBB26_20
.LBB26_18:                              ;   Parent Loop BB26_5 Depth=1
                                        ;     Parent Loop BB26_9 Depth=2
                                        ; =>    This Inner Loop Header: Depth=3
	global_load_dword v17, v[22:23], off
	v_mov_b64_e32 v[24:25], v[20:21]
	s_or_b64 s[46:47], s[46:47], exec
	s_or_b64 s[48:49], s[48:49], exec
                                        ; implicit-def: $vgpr20_vgpr21
	s_waitcnt vmcnt(0)
	v_subrev_u32_e32 v17, s52, v17
	v_cmp_ne_u32_e32 vcc, v17, v4
	s_and_saveexec_b64 s[50:51], vcc
	s_cbranch_execz .LBB26_17
; %bb.19:                               ;   in Loop: Header=BB26_18 Depth=3
	v_lshl_add_u64 v[20:21], v[24:25], 0, 1
	v_cmp_ge_i32_e32 vcc, v20, v9
	s_andn2_b64 s[48:49], s[48:49], exec
	s_and_b64 s[56:57], vcc, exec
	v_lshl_add_u64 v[22:23], v[22:23], 0, 4
	s_andn2_b64 s[46:47], s[46:47], exec
	s_or_b64 s[48:49], s[48:49], s[56:57]
	s_branch .LBB26_17
.LBB26_20:                              ;   in Loop: Header=BB26_9 Depth=2
	s_or_b64 exec, exec, s[42:43]
	s_and_saveexec_b64 s[42:43], s[44:45]
	s_xor_b64 s[42:43], exec, s[42:43]
	s_cbranch_execz .LBB26_22
; %bb.21:                               ;   in Loop: Header=BB26_9 Depth=2
	v_lshl_add_u64 v[20:21], v[24:25], 2, s[12:13]
	global_load_dword v20, v[20:21], off
	s_waitcnt vmcnt(0)
	v_ashrrev_i32_e32 v21, 31, v20
	v_lshl_add_u64 v[20:21], v[20:21], 3, s[14:15]
	global_load_dwordx2 v[20:21], v[20:21], off
	s_waitcnt vmcnt(0)
	v_add_f64 v[18:19], v[18:19], v[20:21]
.LBB26_22:                              ;   in Loop: Header=BB26_9 Depth=2
	s_or_b64 exec, exec, s[42:43]
.LBB26_23:                              ;   in Loop: Header=BB26_9 Depth=2
	s_or_b64 exec, exec, s[4:5]
	v_cmp_lt_i32_e32 vcc, v16, v29
	s_and_saveexec_b64 s[4:5], vcc
	s_cbranch_execz .LBB26_31
; %bb.24:                               ;   in Loop: Header=BB26_9 Depth=2
	v_ashrrev_i32_e32 v17, 31, v16
	v_lshl_add_u64 v[20:21], v[16:17], 2, s[20:21]
	s_mov_b64 s[42:43], 0
                                        ; implicit-def: $sgpr44_sgpr45
                                        ; implicit-def: $sgpr48_sgpr49
                                        ; implicit-def: $sgpr46_sgpr47
	s_branch .LBB26_26
.LBB26_25:                              ;   in Loop: Header=BB26_26 Depth=3
	s_or_b64 exec, exec, s[50:51]
	s_and_b64 s[50:51], exec, s[48:49]
	s_or_b64 s[42:43], s[50:51], s[42:43]
	s_andn2_b64 s[44:45], s[44:45], exec
	s_and_b64 s[50:51], s[46:47], exec
	s_or_b64 s[44:45], s[44:45], s[50:51]
	s_andn2_b64 exec, exec, s[42:43]
	s_cbranch_execz .LBB26_28
.LBB26_26:                              ;   Parent Loop BB26_5 Depth=1
                                        ;     Parent Loop BB26_9 Depth=2
                                        ; =>    This Inner Loop Header: Depth=3
	global_load_dword v9, v[20:21], off
	v_mov_b64_e32 v[22:23], v[16:17]
	s_or_b64 s[46:47], s[46:47], exec
	s_or_b64 s[48:49], s[48:49], exec
                                        ; implicit-def: $vgpr16_vgpr17
	s_waitcnt vmcnt(0)
	v_cmp_ne_u32_e32 vcc, v9, v31
	s_and_saveexec_b64 s[50:51], vcc
	s_cbranch_execz .LBB26_25
; %bb.27:                               ;   in Loop: Header=BB26_26 Depth=3
	v_lshl_add_u64 v[16:17], v[22:23], 0, 1
	v_cmp_ge_i32_e32 vcc, v16, v29
	s_andn2_b64 s[48:49], s[48:49], exec
	s_and_b64 s[56:57], vcc, exec
	v_lshl_add_u64 v[20:21], v[20:21], 0, 4
	s_andn2_b64 s[46:47], s[46:47], exec
	s_or_b64 s[48:49], s[48:49], s[56:57]
	s_branch .LBB26_25
.LBB26_28:                              ;   in Loop: Header=BB26_9 Depth=2
	s_or_b64 exec, exec, s[42:43]
	s_and_saveexec_b64 s[42:43], s[44:45]
	s_xor_b64 s[42:43], exec, s[42:43]
	s_cbranch_execz .LBB26_30
; %bb.29:                               ;   in Loop: Header=BB26_9 Depth=2
	v_lshl_add_u64 v[16:17], v[22:23], 3, s[14:15]
	global_load_dwordx2 v[16:17], v[16:17], off
	s_waitcnt vmcnt(0)
	v_fmac_f64_e32 v[18:19], v[16:17], v[10:11]
.LBB26_30:                              ;   in Loop: Header=BB26_9 Depth=2
	s_or_b64 exec, exec, s[42:43]
.LBB26_31:                              ;   in Loop: Header=BB26_9 Depth=2
	s_or_b64 exec, exec, s[4:5]
	v_add_f64 v[12:13], v[12:13], -v[14:15]
	s_waitcnt vmcnt(0)
	v_div_scale_f64 v[14:15], s[4:5], v[10:11], v[10:11], v[12:13]
	v_rcp_f64_e32 v[16:17], v[14:15]
	v_div_scale_f64 v[20:21], vcc, v[12:13], v[10:11], v[12:13]
	v_fma_f64 v[22:23], -v[14:15], v[16:17], 1.0
	v_fmac_f64_e32 v[16:17], v[16:17], v[22:23]
	v_fma_f64 v[22:23], -v[14:15], v[16:17], 1.0
	v_fmac_f64_e32 v[16:17], v[16:17], v[22:23]
	v_mul_f64 v[22:23], v[20:21], v[16:17]
	v_fma_f64 v[14:15], -v[14:15], v[22:23], v[20:21]
	v_div_fmas_f64 v[14:15], v[14:15], v[16:17], v[22:23]
	v_div_fixup_f64 v[14:15], v[14:15], v[10:11], v[12:13]
	v_cmp_gt_i32_e32 vcc, v4, v8
	s_nop 1
	v_cndmask_b32_e32 v13, v13, v15, vcc
	v_cndmask_b32_e32 v12, v12, v14, vcc
	v_cmp_class_f64_e64 s[42:43], v[12:13], s54
	s_and_saveexec_b64 s[4:5], s[42:43]
	s_cbranch_execz .LBB26_8
; %bb.32:                               ;   in Loop: Header=BB26_9 Depth=2
	v_lshl_add_u64 v[14:15], v[6:7], 3, s[14:15]
	global_store_dwordx2 v[14:15], v[12:13], off
	s_branch .LBB26_8
.LBB26_33:
	s_or_b64 exec, exec, s[6:7]
	v_mov_b32_dpp v4, v2 row_shr:1 row_mask:0xf bank_mask:0xf
	v_mov_b32_dpp v5, v3 row_shr:1 row_mask:0xf bank_mask:0xf
	v_cmp_lt_f64_e32 vcc, v[2:3], v[4:5]
	s_nop 1
	v_cndmask_b32_e32 v3, v3, v5, vcc
	v_cndmask_b32_e32 v2, v2, v4, vcc
	s_nop 0
	v_mov_b32_dpp v5, v3 row_shr:2 row_mask:0xf bank_mask:0xf
	v_mov_b32_dpp v4, v2 row_shr:2 row_mask:0xf bank_mask:0xf
	v_cmp_lt_f64_e32 vcc, v[2:3], v[4:5]
	s_nop 1
	v_cndmask_b32_e32 v3, v3, v5, vcc
	v_cndmask_b32_e32 v2, v2, v4, vcc
	s_nop 0
	;; [unrolled: 7-line block ×4, first 2 shown]
	v_mov_b32_dpp v5, v3 row_bcast:15 row_mask:0xa bank_mask:0xf
	v_mov_b32_dpp v4, v2 row_bcast:15 row_mask:0xa bank_mask:0xf
	v_cmp_lt_f64_e32 vcc, v[2:3], v[4:5]
	s_nop 1
	v_cndmask_b32_e32 v3, v3, v5, vcc
	v_cndmask_b32_e32 v2, v2, v4, vcc
	v_cmp_eq_u32_e32 vcc, 63, v26
	v_mov_b32_dpp v6, v3 row_bcast:31 row_mask:0xc bank_mask:0xf
	v_mov_b32_dpp v4, v2 row_bcast:31 row_mask:0xc bank_mask:0xf
	s_and_saveexec_b64 s[2:3], vcc
	s_cbranch_execz .LBB26_35
; %bb.34:
	v_mov_b32_e32 v5, v6
	v_cmp_lt_f64_e32 vcc, v[2:3], v[4:5]
	v_lshlrev_b32_e32 v1, 3, v1
	s_nop 0
	v_cndmask_b32_e32 v3, v3, v6, vcc
	v_cndmask_b32_e32 v2, v2, v4, vcc
	ds_write_b64 v1, v[2:3]
.LBB26_35:
	s_or_b64 exec, exec, s[2:3]
	v_cmp_gt_u32_e32 vcc, 8, v0
	v_lshlrev_b32_e32 v1, 3, v0
	s_waitcnt lgkmcnt(0)
	s_barrier
	s_and_saveexec_b64 s[2:3], vcc
	s_cbranch_execz .LBB26_37
; %bb.36:
	ds_read2_b64 v[2:5], v1 offset1:8
	s_waitcnt lgkmcnt(0)
	v_cmp_lt_f64_e32 vcc, v[2:3], v[4:5]
	s_nop 1
	v_cndmask_b32_e32 v3, v3, v5, vcc
	v_cndmask_b32_e32 v2, v2, v4, vcc
	ds_write_b64 v1, v[2:3]
.LBB26_37:
	s_or_b64 exec, exec, s[2:3]
	v_cmp_gt_u32_e32 vcc, 4, v0
	s_waitcnt lgkmcnt(0)
	s_barrier
	s_and_saveexec_b64 s[2:3], vcc
	s_cbranch_execz .LBB26_39
; %bb.38:
	ds_read2_b64 v[2:5], v1 offset1:4
	s_waitcnt lgkmcnt(0)
	v_cmp_lt_f64_e32 vcc, v[2:3], v[4:5]
	s_nop 1
	v_cndmask_b32_e32 v3, v3, v5, vcc
	v_cndmask_b32_e32 v2, v2, v4, vcc
	ds_write_b64 v1, v[2:3]
.LBB26_39:
	s_or_b64 exec, exec, s[2:3]
	v_cmp_gt_u32_e32 vcc, 2, v0
	s_waitcnt lgkmcnt(0)
	s_barrier
	s_and_saveexec_b64 s[2:3], vcc
	s_cbranch_execz .LBB26_41
; %bb.40:
	ds_read2_b64 v[2:5], v1 offset1:2
	s_waitcnt lgkmcnt(0)
	v_cmp_lt_f64_e32 vcc, v[2:3], v[4:5]
	s_nop 1
	v_cndmask_b32_e32 v3, v3, v5, vcc
	v_cndmask_b32_e32 v2, v2, v4, vcc
	ds_write_b64 v1, v[2:3]
.LBB26_41:
	s_or_b64 exec, exec, s[2:3]
	v_cmp_eq_u32_e32 vcc, 0, v0
	s_waitcnt lgkmcnt(0)
	s_barrier
	s_and_saveexec_b64 s[4:5], vcc
	s_cbranch_execz .LBB26_43
; %bb.42:
	v_mov_b32_e32 v4, 0
	ds_read_b128 v[0:3], v4
	s_waitcnt lgkmcnt(0)
	v_cmp_lt_f64_e64 s[2:3], v[0:1], v[2:3]
	s_nop 1
	v_cndmask_b32_e64 v1, v1, v3, s[2:3]
	v_cndmask_b32_e64 v0, v0, v2, s[2:3]
	ds_write_b64 v4, v[0:1]
.LBB26_43:
	s_or_b64 exec, exec, s[4:5]
	s_waitcnt lgkmcnt(0)
	s_barrier
	s_and_saveexec_b64 s[2:3], vcc
	s_cbranch_execz .LBB26_46
; %bb.44:
	v_mbcnt_lo_u32_b32 v0, exec_lo, 0
	v_mbcnt_hi_u32_b32 v0, exec_hi, v0
	v_cmp_eq_u32_e32 vcc, 0, v0
	s_and_b64 exec, exec, vcc
	s_cbranch_execz .LBB26_46
; %bb.45:
	s_load_dwordx4 s[0:3], s[0:1], 0x70
	v_mov_b32_e32 v10, 0
	ds_read_b64 v[0:1], v10
	s_waitcnt lgkmcnt(0)
	s_load_dwordx2 s[2:3], s[2:3], 0x0
	s_waitcnt lgkmcnt(0)
	v_div_scale_f64 v[2:3], s[4:5], s[2:3], s[2:3], v[0:1]
	v_rcp_f64_e32 v[4:5], v[2:3]
	v_div_scale_f64 v[6:7], vcc, v[0:1], s[2:3], v[0:1]
	v_fma_f64 v[8:9], -v[2:3], v[4:5], 1.0
	v_fmac_f64_e32 v[4:5], v[4:5], v[8:9]
	v_fma_f64 v[8:9], -v[2:3], v[4:5], 1.0
	v_fmac_f64_e32 v[4:5], v[4:5], v[8:9]
	v_mul_f64 v[8:9], v[6:7], v[4:5]
	v_fma_f64 v[2:3], -v[2:3], v[8:9], v[6:7]
	v_div_fmas_f64 v[2:3], v[2:3], v[4:5], v[8:9]
	v_div_fixup_f64 v[0:1], v[2:3], s[2:3], v[0:1]
	global_atomic_max_f64 v10, v[0:1], s[0:1]
.LBB26_46:
	s_endpgm
	.section	.rodata,"a",@progbits
	.p2align	6, 0x0
	.amdhsa_kernel _ZN9rocsparseL16kernel_calculateILi1024ELi64ELb1EdiiEEvT4_T3_PKS2_S4_PKS1_PKT2_21rocsparse_index_base_S4_S4_S6_S4_S4_S6_S4_PS7_PNS_15floating_traitsIS7_E6data_tEPKSE_
		.amdhsa_group_segment_fixed_size 128
		.amdhsa_private_segment_fixed_size 0
		.amdhsa_kernarg_size 128
		.amdhsa_user_sgpr_count 2
		.amdhsa_user_sgpr_dispatch_ptr 0
		.amdhsa_user_sgpr_queue_ptr 0
		.amdhsa_user_sgpr_kernarg_segment_ptr 1
		.amdhsa_user_sgpr_dispatch_id 0
		.amdhsa_user_sgpr_kernarg_preload_length 0
		.amdhsa_user_sgpr_kernarg_preload_offset 0
		.amdhsa_user_sgpr_private_segment_size 0
		.amdhsa_uses_dynamic_stack 0
		.amdhsa_enable_private_segment 0
		.amdhsa_system_sgpr_workgroup_id_x 1
		.amdhsa_system_sgpr_workgroup_id_y 0
		.amdhsa_system_sgpr_workgroup_id_z 0
		.amdhsa_system_sgpr_workgroup_info 0
		.amdhsa_system_vgpr_workitem_id 0
		.amdhsa_next_free_vgpr 32
		.amdhsa_next_free_sgpr 58
		.amdhsa_accum_offset 32
		.amdhsa_reserve_vcc 1
		.amdhsa_float_round_mode_32 0
		.amdhsa_float_round_mode_16_64 0
		.amdhsa_float_denorm_mode_32 3
		.amdhsa_float_denorm_mode_16_64 3
		.amdhsa_dx10_clamp 1
		.amdhsa_ieee_mode 1
		.amdhsa_fp16_overflow 0
		.amdhsa_tg_split 0
		.amdhsa_exception_fp_ieee_invalid_op 0
		.amdhsa_exception_fp_denorm_src 0
		.amdhsa_exception_fp_ieee_div_zero 0
		.amdhsa_exception_fp_ieee_overflow 0
		.amdhsa_exception_fp_ieee_underflow 0
		.amdhsa_exception_fp_ieee_inexact 0
		.amdhsa_exception_int_div_zero 0
	.end_amdhsa_kernel
	.section	.text._ZN9rocsparseL16kernel_calculateILi1024ELi64ELb1EdiiEEvT4_T3_PKS2_S4_PKS1_PKT2_21rocsparse_index_base_S4_S4_S6_S4_S4_S6_S4_PS7_PNS_15floating_traitsIS7_E6data_tEPKSE_,"axG",@progbits,_ZN9rocsparseL16kernel_calculateILi1024ELi64ELb1EdiiEEvT4_T3_PKS2_S4_PKS1_PKT2_21rocsparse_index_base_S4_S4_S6_S4_S4_S6_S4_PS7_PNS_15floating_traitsIS7_E6data_tEPKSE_,comdat
.Lfunc_end26:
	.size	_ZN9rocsparseL16kernel_calculateILi1024ELi64ELb1EdiiEEvT4_T3_PKS2_S4_PKS1_PKT2_21rocsparse_index_base_S4_S4_S6_S4_S4_S6_S4_PS7_PNS_15floating_traitsIS7_E6data_tEPKSE_, .Lfunc_end26-_ZN9rocsparseL16kernel_calculateILi1024ELi64ELb1EdiiEEvT4_T3_PKS2_S4_PKS1_PKT2_21rocsparse_index_base_S4_S4_S6_S4_S4_S6_S4_PS7_PNS_15floating_traitsIS7_E6data_tEPKSE_
                                        ; -- End function
	.set _ZN9rocsparseL16kernel_calculateILi1024ELi64ELb1EdiiEEvT4_T3_PKS2_S4_PKS1_PKT2_21rocsparse_index_base_S4_S4_S6_S4_S4_S6_S4_PS7_PNS_15floating_traitsIS7_E6data_tEPKSE_.num_vgpr, 32
	.set _ZN9rocsparseL16kernel_calculateILi1024ELi64ELb1EdiiEEvT4_T3_PKS2_S4_PKS1_PKT2_21rocsparse_index_base_S4_S4_S6_S4_S4_S6_S4_PS7_PNS_15floating_traitsIS7_E6data_tEPKSE_.num_agpr, 0
	.set _ZN9rocsparseL16kernel_calculateILi1024ELi64ELb1EdiiEEvT4_T3_PKS2_S4_PKS1_PKT2_21rocsparse_index_base_S4_S4_S6_S4_S4_S6_S4_PS7_PNS_15floating_traitsIS7_E6data_tEPKSE_.numbered_sgpr, 58
	.set _ZN9rocsparseL16kernel_calculateILi1024ELi64ELb1EdiiEEvT4_T3_PKS2_S4_PKS1_PKT2_21rocsparse_index_base_S4_S4_S6_S4_S4_S6_S4_PS7_PNS_15floating_traitsIS7_E6data_tEPKSE_.num_named_barrier, 0
	.set _ZN9rocsparseL16kernel_calculateILi1024ELi64ELb1EdiiEEvT4_T3_PKS2_S4_PKS1_PKT2_21rocsparse_index_base_S4_S4_S6_S4_S4_S6_S4_PS7_PNS_15floating_traitsIS7_E6data_tEPKSE_.private_seg_size, 0
	.set _ZN9rocsparseL16kernel_calculateILi1024ELi64ELb1EdiiEEvT4_T3_PKS2_S4_PKS1_PKT2_21rocsparse_index_base_S4_S4_S6_S4_S4_S6_S4_PS7_PNS_15floating_traitsIS7_E6data_tEPKSE_.uses_vcc, 1
	.set _ZN9rocsparseL16kernel_calculateILi1024ELi64ELb1EdiiEEvT4_T3_PKS2_S4_PKS1_PKT2_21rocsparse_index_base_S4_S4_S6_S4_S4_S6_S4_PS7_PNS_15floating_traitsIS7_E6data_tEPKSE_.uses_flat_scratch, 0
	.set _ZN9rocsparseL16kernel_calculateILi1024ELi64ELb1EdiiEEvT4_T3_PKS2_S4_PKS1_PKT2_21rocsparse_index_base_S4_S4_S6_S4_S4_S6_S4_PS7_PNS_15floating_traitsIS7_E6data_tEPKSE_.has_dyn_sized_stack, 0
	.set _ZN9rocsparseL16kernel_calculateILi1024ELi64ELb1EdiiEEvT4_T3_PKS2_S4_PKS1_PKT2_21rocsparse_index_base_S4_S4_S6_S4_S4_S6_S4_PS7_PNS_15floating_traitsIS7_E6data_tEPKSE_.has_recursion, 0
	.set _ZN9rocsparseL16kernel_calculateILi1024ELi64ELb1EdiiEEvT4_T3_PKS2_S4_PKS1_PKT2_21rocsparse_index_base_S4_S4_S6_S4_S4_S6_S4_PS7_PNS_15floating_traitsIS7_E6data_tEPKSE_.has_indirect_call, 0
	.section	.AMDGPU.csdata,"",@progbits
; Kernel info:
; codeLenInByte = 1996
; TotalNumSgprs: 64
; NumVgprs: 32
; NumAgprs: 0
; TotalNumVgprs: 32
; ScratchSize: 0
; MemoryBound: 1
; FloatMode: 240
; IeeeMode: 1
; LDSByteSize: 128 bytes/workgroup (compile time only)
; SGPRBlocks: 7
; VGPRBlocks: 3
; NumSGPRsForWavesPerEU: 64
; NumVGPRsForWavesPerEU: 32
; AccumOffset: 32
; Occupancy: 8
; WaveLimiterHint : 1
; COMPUTE_PGM_RSRC2:SCRATCH_EN: 0
; COMPUTE_PGM_RSRC2:USER_SGPR: 2
; COMPUTE_PGM_RSRC2:TRAP_HANDLER: 0
; COMPUTE_PGM_RSRC2:TGID_X_EN: 1
; COMPUTE_PGM_RSRC2:TGID_Y_EN: 0
; COMPUTE_PGM_RSRC2:TGID_Z_EN: 0
; COMPUTE_PGM_RSRC2:TIDIG_COMP_CNT: 0
; COMPUTE_PGM_RSRC3_GFX90A:ACCUM_OFFSET: 7
; COMPUTE_PGM_RSRC3_GFX90A:TG_SPLIT: 0
	.section	.text._ZN9rocsparseL16kernel_calculateILi1024ELi1ELb0EdiiEEvT4_T3_PKS2_S4_PKS1_PKT2_21rocsparse_index_base_S4_S4_S6_S4_S4_S6_S4_PS7_PNS_15floating_traitsIS7_E6data_tEPKSE_,"axG",@progbits,_ZN9rocsparseL16kernel_calculateILi1024ELi1ELb0EdiiEEvT4_T3_PKS2_S4_PKS1_PKT2_21rocsparse_index_base_S4_S4_S6_S4_S4_S6_S4_PS7_PNS_15floating_traitsIS7_E6data_tEPKSE_,comdat
	.globl	_ZN9rocsparseL16kernel_calculateILi1024ELi1ELb0EdiiEEvT4_T3_PKS2_S4_PKS1_PKT2_21rocsparse_index_base_S4_S4_S6_S4_S4_S6_S4_PS7_PNS_15floating_traitsIS7_E6data_tEPKSE_ ; -- Begin function _ZN9rocsparseL16kernel_calculateILi1024ELi1ELb0EdiiEEvT4_T3_PKS2_S4_PKS1_PKT2_21rocsparse_index_base_S4_S4_S6_S4_S4_S6_S4_PS7_PNS_15floating_traitsIS7_E6data_tEPKSE_
	.p2align	8
	.type	_ZN9rocsparseL16kernel_calculateILi1024ELi1ELb0EdiiEEvT4_T3_PKS2_S4_PKS1_PKT2_21rocsparse_index_base_S4_S4_S6_S4_S4_S6_S4_PS7_PNS_15floating_traitsIS7_E6data_tEPKSE_,@function
_ZN9rocsparseL16kernel_calculateILi1024ELi1ELb0EdiiEEvT4_T3_PKS2_S4_PKS1_PKT2_21rocsparse_index_base_S4_S4_S6_S4_S4_S6_S4_PS7_PNS_15floating_traitsIS7_E6data_tEPKSE_: ; @_ZN9rocsparseL16kernel_calculateILi1024ELi1ELb0EdiiEEvT4_T3_PKS2_S4_PKS1_PKT2_21rocsparse_index_base_S4_S4_S6_S4_S4_S6_S4_PS7_PNS_15floating_traitsIS7_E6data_tEPKSE_
; %bb.0:
	s_load_dword s3, s[0:1], 0x0
	v_lshl_or_b32 v0, s2, 10, v0
	s_waitcnt lgkmcnt(0)
	v_cmp_gt_i32_e32 vcc, s3, v0
	s_and_saveexec_b64 s[2:3], vcc
	s_cbranch_execz .LBB27_12
; %bb.1:
	s_load_dwordx4 s[4:7], s[0:1], 0x8
	v_ashrrev_i32_e32 v1, 31, v0
	v_lshlrev_b64 v[2:3], 2, v[0:1]
	s_waitcnt lgkmcnt(0)
	v_lshl_add_u64 v[6:7], s[6:7], 0, v[2:3]
	v_lshl_add_u64 v[8:9], s[4:5], 0, v[2:3]
	global_load_dword v1, v[6:7], off
	global_load_dword v4, v[8:9], off
	s_waitcnt vmcnt(0)
	v_cmp_lt_i32_e32 vcc, v4, v1
	s_and_b64 exec, exec, vcc
	s_cbranch_execz .LBB27_12
; %bb.2:
	s_load_dwordx8 s[4:11], s[0:1], 0x30
	s_movk_i32 s29, 0x1f8
	s_waitcnt lgkmcnt(0)
	v_lshl_add_u64 v[6:7], s[4:5], 0, v[2:3]
	v_lshl_add_u64 v[2:3], s[6:7], 0, v[2:3]
	global_load_dword v5, v[2:3], off
	global_load_dword v8, v[6:7], off
	s_load_dword s28, s[0:1], 0x28
	s_load_dwordx4 s[20:23], s[0:1], 0x18
	s_load_dwordx8 s[12:19], s[0:1], 0x50
	s_mov_b64 s[4:5], 0
	s_waitcnt lgkmcnt(0)
	v_subrev_u32_e32 v1, s28, v1
	v_subrev_u32_e32 v2, s28, v4
	s_waitcnt vmcnt(1)
	v_subrev_u32_e32 v16, s28, v5
	s_waitcnt vmcnt(0)
	v_cmp_lt_i32_e64 s[0:1], v8, v5
	v_subrev_u32_e32 v17, s28, v8
	s_branch .LBB27_4
.LBB27_3:                               ;   in Loop: Header=BB27_4 Depth=1
	s_or_b64 exec, exec, s[2:3]
	v_add_u32_e32 v2, 1, v2
	v_cmp_ge_i32_e32 vcc, v2, v1
	s_or_b64 s[4:5], vcc, s[4:5]
	s_andn2_b64 exec, exec, s[4:5]
	s_cbranch_execz .LBB27_12
.LBB27_4:                               ; =>This Loop Header: Depth=1
                                        ;     Child Loop BB27_7 Depth 2
	v_ashrrev_i32_e32 v3, 31, v2
	v_lshl_add_u64 v[4:5], v[2:3], 2, s[20:21]
	global_load_dword v4, v[4:5], off
	s_waitcnt vmcnt(0)
	v_subrev_u32_e32 v4, s28, v4
	v_ashrrev_i32_e32 v5, 31, v4
	v_lshlrev_b64 v[6:7], 2, v[4:5]
	v_lshl_add_u64 v[8:9], s[6:7], 0, v[6:7]
	global_load_dword v12, v[8:9], off
	v_lshl_add_u64 v[10:11], s[12:13], 0, v[6:7]
	v_lshl_add_u64 v[6:7], s[10:11], 0, v[6:7]
	global_load_dword v5, v[10:11], off
	v_lshl_add_u64 v[8:9], v[2:3], 3, s[22:23]
	global_load_dwordx2 v[8:9], v[8:9], off
	s_waitcnt vmcnt(2)
	v_subrev_u32_e32 v10, s28, v12
	global_load_dword v12, v[6:7], off
	v_ashrrev_i32_e32 v11, 31, v10
	v_lshl_add_u64 v[6:7], v[10:11], 3, s[18:19]
	global_load_dwordx2 v[6:7], v[6:7], off
	v_mov_b64_e32 v[10:11], 0
	s_waitcnt vmcnt(1)
	v_cmp_lt_i32_e32 vcc, v12, v5
	s_and_b64 s[2:3], s[0:1], vcc
	s_and_saveexec_b64 s[24:25], s[2:3]
	s_cbranch_execz .LBB27_10
; %bb.5:                                ;   in Loop: Header=BB27_4 Depth=1
	v_subrev_u32_e32 v5, s28, v5
	v_subrev_u32_e32 v12, s28, v12
	v_mov_b64_e32 v[10:11], 0
	s_mov_b64 s[26:27], 0
	v_mov_b32_e32 v14, v17
	s_branch .LBB27_7
.LBB27_6:                               ;   in Loop: Header=BB27_7 Depth=2
	s_or_b64 exec, exec, s[2:3]
	v_cmp_le_i32_e32 vcc, v18, v19
	s_nop 1
	v_addc_co_u32_e32 v14, vcc, 0, v14, vcc
	v_cmp_ge_i32_e32 vcc, v18, v19
	s_nop 1
	v_addc_co_u32_e32 v12, vcc, 0, v12, vcc
	v_cmp_ge_i32_e32 vcc, v14, v16
	v_cmp_ge_i32_e64 s[2:3], v12, v5
	s_or_b64 s[2:3], vcc, s[2:3]
	s_and_b64 s[2:3], exec, s[2:3]
	s_or_b64 s[26:27], s[2:3], s[26:27]
	s_andn2_b64 exec, exec, s[26:27]
	s_cbranch_execz .LBB27_9
.LBB27_7:                               ;   Parent Loop BB27_4 Depth=1
                                        ; =>  This Inner Loop Header: Depth=2
	v_ashrrev_i32_e32 v15, 31, v14
	v_ashrrev_i32_e32 v13, 31, v12
	v_lshl_add_u64 v[18:19], v[14:15], 2, s[8:9]
	v_lshl_add_u64 v[20:21], v[12:13], 2, s[14:15]
	global_load_dword v18, v[18:19], off
	s_nop 0
	global_load_dword v19, v[20:21], off
	s_waitcnt vmcnt(0)
	v_cmp_eq_u32_e32 vcc, v18, v19
	s_and_saveexec_b64 s[2:3], vcc
	s_cbranch_execz .LBB27_6
; %bb.8:                                ;   in Loop: Header=BB27_7 Depth=2
	v_lshl_add_u64 v[20:21], v[12:13], 2, s[16:17]
	global_load_dword v20, v[20:21], off
	v_lshl_add_u64 v[22:23], v[14:15], 3, s[18:19]
	global_load_dwordx2 v[22:23], v[22:23], off
	s_waitcnt vmcnt(1)
	v_ashrrev_i32_e32 v21, 31, v20
	v_lshl_add_u64 v[20:21], v[20:21], 3, s[18:19]
	global_load_dwordx2 v[20:21], v[20:21], off
	s_waitcnt vmcnt(0)
	v_fmac_f64_e32 v[10:11], v[22:23], v[20:21]
	s_branch .LBB27_6
.LBB27_9:                               ;   in Loop: Header=BB27_4 Depth=1
	s_or_b64 exec, exec, s[26:27]
.LBB27_10:                              ;   in Loop: Header=BB27_4 Depth=1
	s_or_b64 exec, exec, s[24:25]
	v_add_f64 v[8:9], v[8:9], -v[10:11]
	s_waitcnt vmcnt(0)
	v_div_scale_f64 v[10:11], s[2:3], v[6:7], v[6:7], v[8:9]
	v_rcp_f64_e32 v[12:13], v[10:11]
	v_div_scale_f64 v[14:15], vcc, v[8:9], v[6:7], v[8:9]
	v_fma_f64 v[18:19], -v[10:11], v[12:13], 1.0
	v_fmac_f64_e32 v[12:13], v[12:13], v[18:19]
	v_fma_f64 v[18:19], -v[10:11], v[12:13], 1.0
	v_fmac_f64_e32 v[12:13], v[12:13], v[18:19]
	v_mul_f64 v[18:19], v[14:15], v[12:13]
	v_fma_f64 v[10:11], -v[10:11], v[18:19], v[14:15]
	v_div_fmas_f64 v[10:11], v[10:11], v[12:13], v[18:19]
	v_div_fixup_f64 v[6:7], v[10:11], v[6:7], v[8:9]
	v_cmp_gt_i32_e32 vcc, v0, v4
	s_nop 1
	v_cndmask_b32_e32 v5, v9, v7, vcc
	v_cndmask_b32_e32 v4, v8, v6, vcc
	v_cmp_class_f64_e64 s[24:25], v[4:5], s29
	s_and_saveexec_b64 s[2:3], s[24:25]
	s_cbranch_execz .LBB27_3
; %bb.11:                               ;   in Loop: Header=BB27_4 Depth=1
	v_lshl_add_u64 v[6:7], v[2:3], 3, s[18:19]
	global_store_dwordx2 v[6:7], v[4:5], off
	s_branch .LBB27_3
.LBB27_12:
	s_endpgm
	.section	.rodata,"a",@progbits
	.p2align	6, 0x0
	.amdhsa_kernel _ZN9rocsparseL16kernel_calculateILi1024ELi1ELb0EdiiEEvT4_T3_PKS2_S4_PKS1_PKT2_21rocsparse_index_base_S4_S4_S6_S4_S4_S6_S4_PS7_PNS_15floating_traitsIS7_E6data_tEPKSE_
		.amdhsa_group_segment_fixed_size 0
		.amdhsa_private_segment_fixed_size 0
		.amdhsa_kernarg_size 128
		.amdhsa_user_sgpr_count 2
		.amdhsa_user_sgpr_dispatch_ptr 0
		.amdhsa_user_sgpr_queue_ptr 0
		.amdhsa_user_sgpr_kernarg_segment_ptr 1
		.amdhsa_user_sgpr_dispatch_id 0
		.amdhsa_user_sgpr_kernarg_preload_length 0
		.amdhsa_user_sgpr_kernarg_preload_offset 0
		.amdhsa_user_sgpr_private_segment_size 0
		.amdhsa_uses_dynamic_stack 0
		.amdhsa_enable_private_segment 0
		.amdhsa_system_sgpr_workgroup_id_x 1
		.amdhsa_system_sgpr_workgroup_id_y 0
		.amdhsa_system_sgpr_workgroup_id_z 0
		.amdhsa_system_sgpr_workgroup_info 0
		.amdhsa_system_vgpr_workitem_id 0
		.amdhsa_next_free_vgpr 24
		.amdhsa_next_free_sgpr 30
		.amdhsa_accum_offset 24
		.amdhsa_reserve_vcc 1
		.amdhsa_float_round_mode_32 0
		.amdhsa_float_round_mode_16_64 0
		.amdhsa_float_denorm_mode_32 3
		.amdhsa_float_denorm_mode_16_64 3
		.amdhsa_dx10_clamp 1
		.amdhsa_ieee_mode 1
		.amdhsa_fp16_overflow 0
		.amdhsa_tg_split 0
		.amdhsa_exception_fp_ieee_invalid_op 0
		.amdhsa_exception_fp_denorm_src 0
		.amdhsa_exception_fp_ieee_div_zero 0
		.amdhsa_exception_fp_ieee_overflow 0
		.amdhsa_exception_fp_ieee_underflow 0
		.amdhsa_exception_fp_ieee_inexact 0
		.amdhsa_exception_int_div_zero 0
	.end_amdhsa_kernel
	.section	.text._ZN9rocsparseL16kernel_calculateILi1024ELi1ELb0EdiiEEvT4_T3_PKS2_S4_PKS1_PKT2_21rocsparse_index_base_S4_S4_S6_S4_S4_S6_S4_PS7_PNS_15floating_traitsIS7_E6data_tEPKSE_,"axG",@progbits,_ZN9rocsparseL16kernel_calculateILi1024ELi1ELb0EdiiEEvT4_T3_PKS2_S4_PKS1_PKT2_21rocsparse_index_base_S4_S4_S6_S4_S4_S6_S4_PS7_PNS_15floating_traitsIS7_E6data_tEPKSE_,comdat
.Lfunc_end27:
	.size	_ZN9rocsparseL16kernel_calculateILi1024ELi1ELb0EdiiEEvT4_T3_PKS2_S4_PKS1_PKT2_21rocsparse_index_base_S4_S4_S6_S4_S4_S6_S4_PS7_PNS_15floating_traitsIS7_E6data_tEPKSE_, .Lfunc_end27-_ZN9rocsparseL16kernel_calculateILi1024ELi1ELb0EdiiEEvT4_T3_PKS2_S4_PKS1_PKT2_21rocsparse_index_base_S4_S4_S6_S4_S4_S6_S4_PS7_PNS_15floating_traitsIS7_E6data_tEPKSE_
                                        ; -- End function
	.set _ZN9rocsparseL16kernel_calculateILi1024ELi1ELb0EdiiEEvT4_T3_PKS2_S4_PKS1_PKT2_21rocsparse_index_base_S4_S4_S6_S4_S4_S6_S4_PS7_PNS_15floating_traitsIS7_E6data_tEPKSE_.num_vgpr, 24
	.set _ZN9rocsparseL16kernel_calculateILi1024ELi1ELb0EdiiEEvT4_T3_PKS2_S4_PKS1_PKT2_21rocsparse_index_base_S4_S4_S6_S4_S4_S6_S4_PS7_PNS_15floating_traitsIS7_E6data_tEPKSE_.num_agpr, 0
	.set _ZN9rocsparseL16kernel_calculateILi1024ELi1ELb0EdiiEEvT4_T3_PKS2_S4_PKS1_PKT2_21rocsparse_index_base_S4_S4_S6_S4_S4_S6_S4_PS7_PNS_15floating_traitsIS7_E6data_tEPKSE_.numbered_sgpr, 30
	.set _ZN9rocsparseL16kernel_calculateILi1024ELi1ELb0EdiiEEvT4_T3_PKS2_S4_PKS1_PKT2_21rocsparse_index_base_S4_S4_S6_S4_S4_S6_S4_PS7_PNS_15floating_traitsIS7_E6data_tEPKSE_.num_named_barrier, 0
	.set _ZN9rocsparseL16kernel_calculateILi1024ELi1ELb0EdiiEEvT4_T3_PKS2_S4_PKS1_PKT2_21rocsparse_index_base_S4_S4_S6_S4_S4_S6_S4_PS7_PNS_15floating_traitsIS7_E6data_tEPKSE_.private_seg_size, 0
	.set _ZN9rocsparseL16kernel_calculateILi1024ELi1ELb0EdiiEEvT4_T3_PKS2_S4_PKS1_PKT2_21rocsparse_index_base_S4_S4_S6_S4_S4_S6_S4_PS7_PNS_15floating_traitsIS7_E6data_tEPKSE_.uses_vcc, 1
	.set _ZN9rocsparseL16kernel_calculateILi1024ELi1ELb0EdiiEEvT4_T3_PKS2_S4_PKS1_PKT2_21rocsparse_index_base_S4_S4_S6_S4_S4_S6_S4_PS7_PNS_15floating_traitsIS7_E6data_tEPKSE_.uses_flat_scratch, 0
	.set _ZN9rocsparseL16kernel_calculateILi1024ELi1ELb0EdiiEEvT4_T3_PKS2_S4_PKS1_PKT2_21rocsparse_index_base_S4_S4_S6_S4_S4_S6_S4_PS7_PNS_15floating_traitsIS7_E6data_tEPKSE_.has_dyn_sized_stack, 0
	.set _ZN9rocsparseL16kernel_calculateILi1024ELi1ELb0EdiiEEvT4_T3_PKS2_S4_PKS1_PKT2_21rocsparse_index_base_S4_S4_S6_S4_S4_S6_S4_PS7_PNS_15floating_traitsIS7_E6data_tEPKSE_.has_recursion, 0
	.set _ZN9rocsparseL16kernel_calculateILi1024ELi1ELb0EdiiEEvT4_T3_PKS2_S4_PKS1_PKT2_21rocsparse_index_base_S4_S4_S6_S4_S4_S6_S4_PS7_PNS_15floating_traitsIS7_E6data_tEPKSE_.has_indirect_call, 0
	.section	.AMDGPU.csdata,"",@progbits
; Kernel info:
; codeLenInByte = 764
; TotalNumSgprs: 36
; NumVgprs: 24
; NumAgprs: 0
; TotalNumVgprs: 24
; ScratchSize: 0
; MemoryBound: 1
; FloatMode: 240
; IeeeMode: 1
; LDSByteSize: 0 bytes/workgroup (compile time only)
; SGPRBlocks: 4
; VGPRBlocks: 2
; NumSGPRsForWavesPerEU: 36
; NumVGPRsForWavesPerEU: 24
; AccumOffset: 24
; Occupancy: 8
; WaveLimiterHint : 1
; COMPUTE_PGM_RSRC2:SCRATCH_EN: 0
; COMPUTE_PGM_RSRC2:USER_SGPR: 2
; COMPUTE_PGM_RSRC2:TRAP_HANDLER: 0
; COMPUTE_PGM_RSRC2:TGID_X_EN: 1
; COMPUTE_PGM_RSRC2:TGID_Y_EN: 0
; COMPUTE_PGM_RSRC2:TGID_Z_EN: 0
; COMPUTE_PGM_RSRC2:TIDIG_COMP_CNT: 0
; COMPUTE_PGM_RSRC3_GFX90A:ACCUM_OFFSET: 5
; COMPUTE_PGM_RSRC3_GFX90A:TG_SPLIT: 0
	.section	.text._ZN9rocsparseL16kernel_calculateILi1024ELi2ELb0EdiiEEvT4_T3_PKS2_S4_PKS1_PKT2_21rocsparse_index_base_S4_S4_S6_S4_S4_S6_S4_PS7_PNS_15floating_traitsIS7_E6data_tEPKSE_,"axG",@progbits,_ZN9rocsparseL16kernel_calculateILi1024ELi2ELb0EdiiEEvT4_T3_PKS2_S4_PKS1_PKT2_21rocsparse_index_base_S4_S4_S6_S4_S4_S6_S4_PS7_PNS_15floating_traitsIS7_E6data_tEPKSE_,comdat
	.globl	_ZN9rocsparseL16kernel_calculateILi1024ELi2ELb0EdiiEEvT4_T3_PKS2_S4_PKS1_PKT2_21rocsparse_index_base_S4_S4_S6_S4_S4_S6_S4_PS7_PNS_15floating_traitsIS7_E6data_tEPKSE_ ; -- Begin function _ZN9rocsparseL16kernel_calculateILi1024ELi2ELb0EdiiEEvT4_T3_PKS2_S4_PKS1_PKT2_21rocsparse_index_base_S4_S4_S6_S4_S4_S6_S4_PS7_PNS_15floating_traitsIS7_E6data_tEPKSE_
	.p2align	8
	.type	_ZN9rocsparseL16kernel_calculateILi1024ELi2ELb0EdiiEEvT4_T3_PKS2_S4_PKS1_PKT2_21rocsparse_index_base_S4_S4_S6_S4_S4_S6_S4_PS7_PNS_15floating_traitsIS7_E6data_tEPKSE_,@function
_ZN9rocsparseL16kernel_calculateILi1024ELi2ELb0EdiiEEvT4_T3_PKS2_S4_PKS1_PKT2_21rocsparse_index_base_S4_S4_S6_S4_S4_S6_S4_PS7_PNS_15floating_traitsIS7_E6data_tEPKSE_: ; @_ZN9rocsparseL16kernel_calculateILi1024ELi2ELb0EdiiEEvT4_T3_PKS2_S4_PKS1_PKT2_21rocsparse_index_base_S4_S4_S6_S4_S4_S6_S4_PS7_PNS_15floating_traitsIS7_E6data_tEPKSE_
; %bb.0:
	s_load_dword s34, s[0:1], 0x0
	v_lshrrev_b32_e32 v1, 1, v0
	v_lshl_or_b32 v4, s2, 10, v1
	s_waitcnt lgkmcnt(0)
	v_cmp_gt_i32_e32 vcc, s34, v4
	s_and_saveexec_b64 s[2:3], vcc
	s_cbranch_execz .LBB28_24
; %bb.1:
	s_load_dwordx8 s[4:11], s[0:1], 0x8
	v_ashrrev_i32_e32 v5, 31, v4
	v_lshlrev_b64 v[2:3], 2, v[4:5]
	v_and_b32_e32 v0, 1, v0
	s_waitcnt lgkmcnt(0)
	v_lshl_add_u64 v[6:7], s[6:7], 0, v[2:3]
	v_lshl_add_u64 v[8:9], s[4:5], 0, v[2:3]
	global_load_dword v1, v[6:7], off
	global_load_dword v10, v[8:9], off
	s_load_dword s33, s[0:1], 0x28
	s_load_dwordx8 s[12:19], s[0:1], 0x50
	s_load_dwordx8 s[20:27], s[0:1], 0x30
	s_waitcnt lgkmcnt(0)
	v_subrev_u32_e32 v5, s33, v0
	s_waitcnt vmcnt(1)
	v_subrev_u32_e32 v22, s33, v1
	s_waitcnt vmcnt(0)
	v_add_u32_e32 v0, v5, v10
	v_cmp_lt_i32_e32 vcc, v0, v22
	s_and_saveexec_b64 s[4:5], vcc
	s_cbranch_execz .LBB28_12
; %bb.2:
	v_lshl_add_u64 v[10:11], s[22:23], 0, v[2:3]
	global_load_dword v1, v[10:11], off
	v_lshl_add_u64 v[10:11], s[20:21], 0, v[2:3]
	global_load_dword v10, v[10:11], off
	s_mov_b64 s[6:7], 0
	s_movk_i32 s35, 0x1f8
	s_waitcnt vmcnt(1)
	v_subrev_u32_e32 v23, s33, v1
	s_waitcnt vmcnt(0)
	v_cmp_lt_i32_e64 s[0:1], v10, v1
	v_subrev_u32_e32 v24, s33, v10
	s_branch .LBB28_4
.LBB28_3:                               ;   in Loop: Header=BB28_4 Depth=1
	s_or_b64 exec, exec, s[2:3]
	v_add_u32_e32 v0, 2, v0
	v_cmp_ge_i32_e32 vcc, v0, v22
	s_or_b64 s[6:7], vcc, s[6:7]
	s_andn2_b64 exec, exec, s[6:7]
	s_cbranch_execz .LBB28_12
.LBB28_4:                               ; =>This Loop Header: Depth=1
                                        ;     Child Loop BB28_7 Depth 2
	v_ashrrev_i32_e32 v1, 31, v0
	v_lshl_add_u64 v[10:11], v[0:1], 2, s[8:9]
	global_load_dword v10, v[10:11], off
	s_waitcnt vmcnt(0)
	v_subrev_u32_e32 v10, s33, v10
	v_ashrrev_i32_e32 v11, 31, v10
	v_lshlrev_b64 v[12:13], 2, v[10:11]
	v_lshl_add_u64 v[14:15], s[22:23], 0, v[12:13]
	global_load_dword v18, v[14:15], off
	v_lshl_add_u64 v[16:17], s[12:13], 0, v[12:13]
	v_lshl_add_u64 v[12:13], s[26:27], 0, v[12:13]
	global_load_dword v11, v[16:17], off
	v_lshl_add_u64 v[14:15], v[0:1], 3, s[10:11]
	global_load_dwordx2 v[14:15], v[14:15], off
	s_waitcnt vmcnt(2)
	v_subrev_u32_e32 v16, s33, v18
	global_load_dword v18, v[12:13], off
	v_ashrrev_i32_e32 v17, 31, v16
	v_lshl_add_u64 v[12:13], v[16:17], 3, s[18:19]
	global_load_dwordx2 v[12:13], v[12:13], off
	v_mov_b64_e32 v[16:17], 0
	s_waitcnt vmcnt(1)
	v_cmp_lt_i32_e32 vcc, v18, v11
	s_and_b64 s[2:3], s[0:1], vcc
	s_and_saveexec_b64 s[28:29], s[2:3]
	s_cbranch_execz .LBB28_10
; %bb.5:                                ;   in Loop: Header=BB28_4 Depth=1
	v_subrev_u32_e32 v11, s33, v11
	v_subrev_u32_e32 v18, s33, v18
	v_mov_b64_e32 v[16:17], 0
	s_mov_b64 s[30:31], 0
	v_mov_b32_e32 v20, v24
	s_branch .LBB28_7
.LBB28_6:                               ;   in Loop: Header=BB28_7 Depth=2
	s_or_b64 exec, exec, s[2:3]
	v_cmp_le_i32_e32 vcc, v25, v26
	s_nop 1
	v_addc_co_u32_e32 v20, vcc, 0, v20, vcc
	v_cmp_ge_i32_e32 vcc, v25, v26
	s_nop 1
	v_addc_co_u32_e32 v18, vcc, 0, v18, vcc
	v_cmp_ge_i32_e32 vcc, v20, v23
	v_cmp_ge_i32_e64 s[2:3], v18, v11
	s_or_b64 s[2:3], vcc, s[2:3]
	s_and_b64 s[2:3], exec, s[2:3]
	s_or_b64 s[30:31], s[2:3], s[30:31]
	s_andn2_b64 exec, exec, s[30:31]
	s_cbranch_execz .LBB28_9
.LBB28_7:                               ;   Parent Loop BB28_4 Depth=1
                                        ; =>  This Inner Loop Header: Depth=2
	v_ashrrev_i32_e32 v21, 31, v20
	v_lshl_add_u64 v[26:27], v[20:21], 2, s[24:25]
	v_ashrrev_i32_e32 v19, 31, v18
	global_load_dword v25, v[26:27], off
	v_lshl_add_u64 v[26:27], v[18:19], 2, s[14:15]
	global_load_dword v26, v[26:27], off
	s_waitcnt vmcnt(0)
	v_cmp_eq_u32_e32 vcc, v25, v26
	s_and_saveexec_b64 s[2:3], vcc
	s_cbranch_execz .LBB28_6
; %bb.8:                                ;   in Loop: Header=BB28_7 Depth=2
	v_lshl_add_u64 v[28:29], v[18:19], 2, s[16:17]
	global_load_dword v28, v[28:29], off
	v_lshl_add_u64 v[30:31], v[20:21], 3, s[18:19]
	global_load_dwordx2 v[30:31], v[30:31], off
	s_waitcnt vmcnt(1)
	v_ashrrev_i32_e32 v29, 31, v28
	v_lshl_add_u64 v[28:29], v[28:29], 3, s[18:19]
	global_load_dwordx2 v[28:29], v[28:29], off
	s_waitcnt vmcnt(0)
	v_fmac_f64_e32 v[16:17], v[30:31], v[28:29]
	s_branch .LBB28_6
.LBB28_9:                               ;   in Loop: Header=BB28_4 Depth=1
	s_or_b64 exec, exec, s[30:31]
.LBB28_10:                              ;   in Loop: Header=BB28_4 Depth=1
	s_or_b64 exec, exec, s[28:29]
	v_add_f64 v[14:15], v[14:15], -v[16:17]
	s_waitcnt vmcnt(0)
	v_div_scale_f64 v[16:17], s[2:3], v[12:13], v[12:13], v[14:15]
	v_rcp_f64_e32 v[18:19], v[16:17]
	v_div_scale_f64 v[20:21], vcc, v[14:15], v[12:13], v[14:15]
	v_fma_f64 v[26:27], -v[16:17], v[18:19], 1.0
	v_fmac_f64_e32 v[18:19], v[18:19], v[26:27]
	v_fma_f64 v[26:27], -v[16:17], v[18:19], 1.0
	v_fmac_f64_e32 v[18:19], v[18:19], v[26:27]
	v_mul_f64 v[26:27], v[20:21], v[18:19]
	v_fma_f64 v[16:17], -v[16:17], v[26:27], v[20:21]
	v_div_fmas_f64 v[16:17], v[16:17], v[18:19], v[26:27]
	v_div_fixup_f64 v[12:13], v[16:17], v[12:13], v[14:15]
	v_cmp_gt_i32_e32 vcc, v4, v10
	s_nop 1
	v_cndmask_b32_e32 v11, v15, v13, vcc
	v_cndmask_b32_e32 v10, v14, v12, vcc
	v_cmp_class_f64_e64 s[28:29], v[10:11], s35
	s_and_saveexec_b64 s[2:3], s[28:29]
	s_cbranch_execz .LBB28_3
; %bb.11:                               ;   in Loop: Header=BB28_4 Depth=1
	v_lshl_add_u64 v[12:13], v[0:1], 3, s[18:19]
	global_store_dwordx2 v[12:13], v[10:11], off
	s_branch .LBB28_3
.LBB28_12:
	s_or_b64 exec, exec, s[4:5]
	v_or_b32_e32 v14, 0x200, v4
	v_cmp_gt_i32_e32 vcc, s34, v14
	s_and_b64 exec, exec, vcc
	s_cbranch_execz .LBB28_24
; %bb.13:
	global_load_dword v0, v[6:7], off offset:2048
	global_load_dword v1, v[8:9], off offset:2048
	s_waitcnt vmcnt(1)
	v_subrev_u32_e32 v15, s33, v0
	s_waitcnt vmcnt(0)
	v_add_u32_e32 v0, v5, v1
	v_cmp_lt_i32_e32 vcc, v0, v15
	s_and_b64 exec, exec, vcc
	s_cbranch_execz .LBB28_24
; %bb.14:
	v_lshl_add_u64 v[4:5], s[22:23], 0, v[2:3]
	v_lshl_add_u64 v[2:3], s[20:21], 0, v[2:3]
	global_load_dword v1, v[4:5], off offset:2048
	s_mov_b64 s[4:5], 0
	global_load_dword v2, v[2:3], off offset:2048
	s_movk_i32 s28, 0x1f8
	s_waitcnt vmcnt(1)
	v_subrev_u32_e32 v16, s33, v1
	s_waitcnt vmcnt(0)
	v_cmp_lt_i32_e64 s[0:1], v2, v1
	v_subrev_u32_e32 v17, s33, v2
	s_branch .LBB28_16
.LBB28_15:                              ;   in Loop: Header=BB28_16 Depth=1
	s_or_b64 exec, exec, s[2:3]
	v_add_u32_e32 v0, 2, v0
	v_cmp_ge_i32_e32 vcc, v0, v15
	s_or_b64 s[4:5], vcc, s[4:5]
	s_andn2_b64 exec, exec, s[4:5]
	s_cbranch_execz .LBB28_24
.LBB28_16:                              ; =>This Loop Header: Depth=1
                                        ;     Child Loop BB28_19 Depth 2
	v_ashrrev_i32_e32 v1, 31, v0
	v_lshl_add_u64 v[2:3], v[0:1], 2, s[8:9]
	global_load_dword v2, v[2:3], off
	s_waitcnt vmcnt(0)
	v_subrev_u32_e32 v2, s33, v2
	v_ashrrev_i32_e32 v3, 31, v2
	v_lshlrev_b64 v[4:5], 2, v[2:3]
	v_lshl_add_u64 v[6:7], s[22:23], 0, v[4:5]
	global_load_dword v10, v[6:7], off
	v_lshl_add_u64 v[8:9], s[12:13], 0, v[4:5]
	v_lshl_add_u64 v[4:5], s[26:27], 0, v[4:5]
	global_load_dword v3, v[8:9], off
	v_lshl_add_u64 v[6:7], v[0:1], 3, s[10:11]
	global_load_dwordx2 v[6:7], v[6:7], off
	s_waitcnt vmcnt(2)
	v_subrev_u32_e32 v8, s33, v10
	global_load_dword v10, v[4:5], off
	v_ashrrev_i32_e32 v9, 31, v8
	v_lshl_add_u64 v[4:5], v[8:9], 3, s[18:19]
	global_load_dwordx2 v[4:5], v[4:5], off
	v_mov_b64_e32 v[8:9], 0
	s_waitcnt vmcnt(1)
	v_cmp_lt_i32_e32 vcc, v10, v3
	s_and_b64 s[2:3], s[0:1], vcc
	s_and_saveexec_b64 s[6:7], s[2:3]
	s_cbranch_execz .LBB28_22
; %bb.17:                               ;   in Loop: Header=BB28_16 Depth=1
	v_subrev_u32_e32 v3, s33, v3
	v_subrev_u32_e32 v10, s33, v10
	v_mov_b64_e32 v[8:9], 0
	s_mov_b64 s[20:21], 0
	v_mov_b32_e32 v12, v17
	s_branch .LBB28_19
.LBB28_18:                              ;   in Loop: Header=BB28_19 Depth=2
	s_or_b64 exec, exec, s[2:3]
	v_cmp_le_i32_e32 vcc, v18, v19
	s_nop 1
	v_addc_co_u32_e32 v12, vcc, 0, v12, vcc
	v_cmp_ge_i32_e32 vcc, v18, v19
	s_nop 1
	v_addc_co_u32_e32 v10, vcc, 0, v10, vcc
	v_cmp_ge_i32_e32 vcc, v12, v16
	v_cmp_ge_i32_e64 s[2:3], v10, v3
	s_or_b64 s[2:3], vcc, s[2:3]
	s_and_b64 s[2:3], exec, s[2:3]
	s_or_b64 s[20:21], s[2:3], s[20:21]
	s_andn2_b64 exec, exec, s[20:21]
	s_cbranch_execz .LBB28_21
.LBB28_19:                              ;   Parent Loop BB28_16 Depth=1
                                        ; =>  This Inner Loop Header: Depth=2
	v_ashrrev_i32_e32 v13, 31, v12
	v_ashrrev_i32_e32 v11, 31, v10
	v_lshl_add_u64 v[18:19], v[12:13], 2, s[24:25]
	v_lshl_add_u64 v[20:21], v[10:11], 2, s[14:15]
	global_load_dword v18, v[18:19], off
	s_nop 0
	global_load_dword v19, v[20:21], off
	s_waitcnt vmcnt(0)
	v_cmp_eq_u32_e32 vcc, v18, v19
	s_and_saveexec_b64 s[2:3], vcc
	s_cbranch_execz .LBB28_18
; %bb.20:                               ;   in Loop: Header=BB28_19 Depth=2
	v_lshl_add_u64 v[20:21], v[10:11], 2, s[16:17]
	global_load_dword v20, v[20:21], off
	v_lshl_add_u64 v[22:23], v[12:13], 3, s[18:19]
	global_load_dwordx2 v[22:23], v[22:23], off
	s_waitcnt vmcnt(1)
	v_ashrrev_i32_e32 v21, 31, v20
	v_lshl_add_u64 v[20:21], v[20:21], 3, s[18:19]
	global_load_dwordx2 v[20:21], v[20:21], off
	s_waitcnt vmcnt(0)
	v_fmac_f64_e32 v[8:9], v[22:23], v[20:21]
	s_branch .LBB28_18
.LBB28_21:                              ;   in Loop: Header=BB28_16 Depth=1
	s_or_b64 exec, exec, s[20:21]
.LBB28_22:                              ;   in Loop: Header=BB28_16 Depth=1
	s_or_b64 exec, exec, s[6:7]
	v_add_f64 v[6:7], v[6:7], -v[8:9]
	s_waitcnt vmcnt(0)
	v_div_scale_f64 v[8:9], s[2:3], v[4:5], v[4:5], v[6:7]
	v_rcp_f64_e32 v[10:11], v[8:9]
	v_div_scale_f64 v[12:13], vcc, v[6:7], v[4:5], v[6:7]
	v_fma_f64 v[18:19], -v[8:9], v[10:11], 1.0
	v_fmac_f64_e32 v[10:11], v[10:11], v[18:19]
	v_fma_f64 v[18:19], -v[8:9], v[10:11], 1.0
	v_fmac_f64_e32 v[10:11], v[10:11], v[18:19]
	v_mul_f64 v[18:19], v[12:13], v[10:11]
	v_fma_f64 v[8:9], -v[8:9], v[18:19], v[12:13]
	v_div_fmas_f64 v[8:9], v[8:9], v[10:11], v[18:19]
	v_div_fixup_f64 v[4:5], v[8:9], v[4:5], v[6:7]
	v_cmp_gt_i32_e32 vcc, v14, v2
	s_nop 1
	v_cndmask_b32_e32 v3, v7, v5, vcc
	v_cndmask_b32_e32 v2, v6, v4, vcc
	v_cmp_class_f64_e64 s[6:7], v[2:3], s28
	s_and_saveexec_b64 s[2:3], s[6:7]
	s_cbranch_execz .LBB28_15
; %bb.23:                               ;   in Loop: Header=BB28_16 Depth=1
	v_lshl_add_u64 v[4:5], v[0:1], 3, s[18:19]
	global_store_dwordx2 v[4:5], v[2:3], off
	s_branch .LBB28_15
.LBB28_24:
	s_endpgm
	.section	.rodata,"a",@progbits
	.p2align	6, 0x0
	.amdhsa_kernel _ZN9rocsparseL16kernel_calculateILi1024ELi2ELb0EdiiEEvT4_T3_PKS2_S4_PKS1_PKT2_21rocsparse_index_base_S4_S4_S6_S4_S4_S6_S4_PS7_PNS_15floating_traitsIS7_E6data_tEPKSE_
		.amdhsa_group_segment_fixed_size 0
		.amdhsa_private_segment_fixed_size 0
		.amdhsa_kernarg_size 128
		.amdhsa_user_sgpr_count 2
		.amdhsa_user_sgpr_dispatch_ptr 0
		.amdhsa_user_sgpr_queue_ptr 0
		.amdhsa_user_sgpr_kernarg_segment_ptr 1
		.amdhsa_user_sgpr_dispatch_id 0
		.amdhsa_user_sgpr_kernarg_preload_length 0
		.amdhsa_user_sgpr_kernarg_preload_offset 0
		.amdhsa_user_sgpr_private_segment_size 0
		.amdhsa_uses_dynamic_stack 0
		.amdhsa_enable_private_segment 0
		.amdhsa_system_sgpr_workgroup_id_x 1
		.amdhsa_system_sgpr_workgroup_id_y 0
		.amdhsa_system_sgpr_workgroup_id_z 0
		.amdhsa_system_sgpr_workgroup_info 0
		.amdhsa_system_vgpr_workitem_id 0
		.amdhsa_next_free_vgpr 32
		.amdhsa_next_free_sgpr 36
		.amdhsa_accum_offset 32
		.amdhsa_reserve_vcc 1
		.amdhsa_float_round_mode_32 0
		.amdhsa_float_round_mode_16_64 0
		.amdhsa_float_denorm_mode_32 3
		.amdhsa_float_denorm_mode_16_64 3
		.amdhsa_dx10_clamp 1
		.amdhsa_ieee_mode 1
		.amdhsa_fp16_overflow 0
		.amdhsa_tg_split 0
		.amdhsa_exception_fp_ieee_invalid_op 0
		.amdhsa_exception_fp_denorm_src 0
		.amdhsa_exception_fp_ieee_div_zero 0
		.amdhsa_exception_fp_ieee_overflow 0
		.amdhsa_exception_fp_ieee_underflow 0
		.amdhsa_exception_fp_ieee_inexact 0
		.amdhsa_exception_int_div_zero 0
	.end_amdhsa_kernel
	.section	.text._ZN9rocsparseL16kernel_calculateILi1024ELi2ELb0EdiiEEvT4_T3_PKS2_S4_PKS1_PKT2_21rocsparse_index_base_S4_S4_S6_S4_S4_S6_S4_PS7_PNS_15floating_traitsIS7_E6data_tEPKSE_,"axG",@progbits,_ZN9rocsparseL16kernel_calculateILi1024ELi2ELb0EdiiEEvT4_T3_PKS2_S4_PKS1_PKT2_21rocsparse_index_base_S4_S4_S6_S4_S4_S6_S4_PS7_PNS_15floating_traitsIS7_E6data_tEPKSE_,comdat
.Lfunc_end28:
	.size	_ZN9rocsparseL16kernel_calculateILi1024ELi2ELb0EdiiEEvT4_T3_PKS2_S4_PKS1_PKT2_21rocsparse_index_base_S4_S4_S6_S4_S4_S6_S4_PS7_PNS_15floating_traitsIS7_E6data_tEPKSE_, .Lfunc_end28-_ZN9rocsparseL16kernel_calculateILi1024ELi2ELb0EdiiEEvT4_T3_PKS2_S4_PKS1_PKT2_21rocsparse_index_base_S4_S4_S6_S4_S4_S6_S4_PS7_PNS_15floating_traitsIS7_E6data_tEPKSE_
                                        ; -- End function
	.set _ZN9rocsparseL16kernel_calculateILi1024ELi2ELb0EdiiEEvT4_T3_PKS2_S4_PKS1_PKT2_21rocsparse_index_base_S4_S4_S6_S4_S4_S6_S4_PS7_PNS_15floating_traitsIS7_E6data_tEPKSE_.num_vgpr, 32
	.set _ZN9rocsparseL16kernel_calculateILi1024ELi2ELb0EdiiEEvT4_T3_PKS2_S4_PKS1_PKT2_21rocsparse_index_base_S4_S4_S6_S4_S4_S6_S4_PS7_PNS_15floating_traitsIS7_E6data_tEPKSE_.num_agpr, 0
	.set _ZN9rocsparseL16kernel_calculateILi1024ELi2ELb0EdiiEEvT4_T3_PKS2_S4_PKS1_PKT2_21rocsparse_index_base_S4_S4_S6_S4_S4_S6_S4_PS7_PNS_15floating_traitsIS7_E6data_tEPKSE_.numbered_sgpr, 36
	.set _ZN9rocsparseL16kernel_calculateILi1024ELi2ELb0EdiiEEvT4_T3_PKS2_S4_PKS1_PKT2_21rocsparse_index_base_S4_S4_S6_S4_S4_S6_S4_PS7_PNS_15floating_traitsIS7_E6data_tEPKSE_.num_named_barrier, 0
	.set _ZN9rocsparseL16kernel_calculateILi1024ELi2ELb0EdiiEEvT4_T3_PKS2_S4_PKS1_PKT2_21rocsparse_index_base_S4_S4_S6_S4_S4_S6_S4_PS7_PNS_15floating_traitsIS7_E6data_tEPKSE_.private_seg_size, 0
	.set _ZN9rocsparseL16kernel_calculateILi1024ELi2ELb0EdiiEEvT4_T3_PKS2_S4_PKS1_PKT2_21rocsparse_index_base_S4_S4_S6_S4_S4_S6_S4_PS7_PNS_15floating_traitsIS7_E6data_tEPKSE_.uses_vcc, 1
	.set _ZN9rocsparseL16kernel_calculateILi1024ELi2ELb0EdiiEEvT4_T3_PKS2_S4_PKS1_PKT2_21rocsparse_index_base_S4_S4_S6_S4_S4_S6_S4_PS7_PNS_15floating_traitsIS7_E6data_tEPKSE_.uses_flat_scratch, 0
	.set _ZN9rocsparseL16kernel_calculateILi1024ELi2ELb0EdiiEEvT4_T3_PKS2_S4_PKS1_PKT2_21rocsparse_index_base_S4_S4_S6_S4_S4_S6_S4_PS7_PNS_15floating_traitsIS7_E6data_tEPKSE_.has_dyn_sized_stack, 0
	.set _ZN9rocsparseL16kernel_calculateILi1024ELi2ELb0EdiiEEvT4_T3_PKS2_S4_PKS1_PKT2_21rocsparse_index_base_S4_S4_S6_S4_S4_S6_S4_PS7_PNS_15floating_traitsIS7_E6data_tEPKSE_.has_recursion, 0
	.set _ZN9rocsparseL16kernel_calculateILi1024ELi2ELb0EdiiEEvT4_T3_PKS2_S4_PKS1_PKT2_21rocsparse_index_base_S4_S4_S6_S4_S4_S6_S4_PS7_PNS_15floating_traitsIS7_E6data_tEPKSE_.has_indirect_call, 0
	.section	.AMDGPU.csdata,"",@progbits
; Kernel info:
; codeLenInByte = 1440
; TotalNumSgprs: 42
; NumVgprs: 32
; NumAgprs: 0
; TotalNumVgprs: 32
; ScratchSize: 0
; MemoryBound: 1
; FloatMode: 240
; IeeeMode: 1
; LDSByteSize: 0 bytes/workgroup (compile time only)
; SGPRBlocks: 5
; VGPRBlocks: 3
; NumSGPRsForWavesPerEU: 42
; NumVGPRsForWavesPerEU: 32
; AccumOffset: 32
; Occupancy: 8
; WaveLimiterHint : 1
; COMPUTE_PGM_RSRC2:SCRATCH_EN: 0
; COMPUTE_PGM_RSRC2:USER_SGPR: 2
; COMPUTE_PGM_RSRC2:TRAP_HANDLER: 0
; COMPUTE_PGM_RSRC2:TGID_X_EN: 1
; COMPUTE_PGM_RSRC2:TGID_Y_EN: 0
; COMPUTE_PGM_RSRC2:TGID_Z_EN: 0
; COMPUTE_PGM_RSRC2:TIDIG_COMP_CNT: 0
; COMPUTE_PGM_RSRC3_GFX90A:ACCUM_OFFSET: 7
; COMPUTE_PGM_RSRC3_GFX90A:TG_SPLIT: 0
	.section	.text._ZN9rocsparseL16kernel_calculateILi1024ELi4ELb0EdiiEEvT4_T3_PKS2_S4_PKS1_PKT2_21rocsparse_index_base_S4_S4_S6_S4_S4_S6_S4_PS7_PNS_15floating_traitsIS7_E6data_tEPKSE_,"axG",@progbits,_ZN9rocsparseL16kernel_calculateILi1024ELi4ELb0EdiiEEvT4_T3_PKS2_S4_PKS1_PKT2_21rocsparse_index_base_S4_S4_S6_S4_S4_S6_S4_PS7_PNS_15floating_traitsIS7_E6data_tEPKSE_,comdat
	.globl	_ZN9rocsparseL16kernel_calculateILi1024ELi4ELb0EdiiEEvT4_T3_PKS2_S4_PKS1_PKT2_21rocsparse_index_base_S4_S4_S6_S4_S4_S6_S4_PS7_PNS_15floating_traitsIS7_E6data_tEPKSE_ ; -- Begin function _ZN9rocsparseL16kernel_calculateILi1024ELi4ELb0EdiiEEvT4_T3_PKS2_S4_PKS1_PKT2_21rocsparse_index_base_S4_S4_S6_S4_S4_S6_S4_PS7_PNS_15floating_traitsIS7_E6data_tEPKSE_
	.p2align	8
	.type	_ZN9rocsparseL16kernel_calculateILi1024ELi4ELb0EdiiEEvT4_T3_PKS2_S4_PKS1_PKT2_21rocsparse_index_base_S4_S4_S6_S4_S4_S6_S4_PS7_PNS_15floating_traitsIS7_E6data_tEPKSE_,@function
_ZN9rocsparseL16kernel_calculateILi1024ELi4ELb0EdiiEEvT4_T3_PKS2_S4_PKS1_PKT2_21rocsparse_index_base_S4_S4_S6_S4_S4_S6_S4_PS7_PNS_15floating_traitsIS7_E6data_tEPKSE_: ; @_ZN9rocsparseL16kernel_calculateILi1024ELi4ELb0EdiiEEvT4_T3_PKS2_S4_PKS1_PKT2_21rocsparse_index_base_S4_S4_S6_S4_S4_S6_S4_PS7_PNS_15floating_traitsIS7_E6data_tEPKSE_
; %bb.0:
	s_load_dword s33, s[0:1], 0x0
	v_lshrrev_b32_e32 v1, 2, v0
	v_lshl_or_b32 v16, s2, 10, v1
	s_waitcnt lgkmcnt(0)
	v_cmp_gt_i32_e32 vcc, s33, v16
	s_and_saveexec_b64 s[2:3], vcc
	s_cbranch_execz .LBB29_15
; %bb.1:
	s_load_dword s38, s[0:1], 0x28
	s_load_dwordx8 s[4:11], s[0:1], 0x50
	s_load_dwordx8 s[12:19], s[0:1], 0x30
	;; [unrolled: 1-line block ×3, first 2 shown]
	v_and_b32_e32 v0, 3, v0
	s_waitcnt lgkmcnt(0)
	v_subrev_u32_e32 v17, s38, v0
	s_mov_b32 s39, 0
	s_movk_i32 s40, 0x1f8
	s_branch .LBB29_3
.LBB29_2:                               ;   in Loop: Header=BB29_3 Depth=1
	s_or_b64 exec, exec, s[28:29]
	s_add_i32 s39, s39, 1
	s_cmp_lg_u32 s39, 4
	s_cbranch_scc0 .LBB29_15
.LBB29_3:                               ; =>This Loop Header: Depth=1
                                        ;     Child Loop BB29_7 Depth 2
                                        ;       Child Loop BB29_10 Depth 3
	v_lshl_add_u32 v0, s39, 8, v16
	v_cmp_gt_i32_e32 vcc, s33, v0
	s_and_saveexec_b64 s[28:29], vcc
	s_cbranch_execz .LBB29_2
; %bb.4:                                ;   in Loop: Header=BB29_3 Depth=1
	v_ashrrev_i32_e32 v1, 31, v0
	v_lshlrev_b64 v[4:5], 2, v[0:1]
	v_lshl_add_u64 v[2:3], s[22:23], 0, v[4:5]
	global_load_dword v1, v[2:3], off
	v_lshl_add_u64 v[2:3], s[20:21], 0, v[4:5]
	global_load_dword v2, v[2:3], off
	s_waitcnt vmcnt(1)
	v_subrev_u32_e32 v1, s38, v1
	s_waitcnt vmcnt(0)
	v_add_u32_e32 v2, v17, v2
	v_cmp_lt_i32_e32 vcc, v2, v1
	s_and_b64 exec, exec, vcc
	s_cbranch_execz .LBB29_2
; %bb.5:                                ;   in Loop: Header=BB29_3 Depth=1
	v_lshl_add_u64 v[6:7], s[14:15], 0, v[4:5]
	v_lshl_add_u64 v[4:5], s[12:13], 0, v[4:5]
	global_load_dword v3, v[6:7], off
	s_mov_b64 s[30:31], 0
	global_load_dword v4, v[4:5], off
	s_waitcnt vmcnt(1)
	v_subrev_u32_e32 v18, s38, v3
	s_waitcnt vmcnt(0)
	v_cmp_lt_i32_e64 s[0:1], v4, v3
	v_subrev_u32_e32 v19, s38, v4
	s_branch .LBB29_7
.LBB29_6:                               ;   in Loop: Header=BB29_7 Depth=2
	s_or_b64 exec, exec, s[2:3]
	v_add_u32_e32 v2, 4, v2
	v_cmp_ge_i32_e32 vcc, v2, v1
	s_or_b64 s[30:31], vcc, s[30:31]
	s_andn2_b64 exec, exec, s[30:31]
	s_cbranch_execz .LBB29_2
.LBB29_7:                               ;   Parent Loop BB29_3 Depth=1
                                        ; =>  This Loop Header: Depth=2
                                        ;       Child Loop BB29_10 Depth 3
	v_ashrrev_i32_e32 v3, 31, v2
	v_lshl_add_u64 v[4:5], v[2:3], 2, s[24:25]
	global_load_dword v4, v[4:5], off
	s_waitcnt vmcnt(0)
	v_subrev_u32_e32 v4, s38, v4
	v_ashrrev_i32_e32 v5, 31, v4
	v_lshlrev_b64 v[6:7], 2, v[4:5]
	v_lshl_add_u64 v[8:9], s[14:15], 0, v[6:7]
	global_load_dword v12, v[8:9], off
	v_lshl_add_u64 v[10:11], s[4:5], 0, v[6:7]
	v_lshl_add_u64 v[6:7], s[18:19], 0, v[6:7]
	global_load_dword v5, v[10:11], off
	v_lshl_add_u64 v[8:9], v[2:3], 3, s[26:27]
	global_load_dwordx2 v[8:9], v[8:9], off
	s_waitcnt vmcnt(2)
	v_subrev_u32_e32 v10, s38, v12
	global_load_dword v12, v[6:7], off
	v_ashrrev_i32_e32 v11, 31, v10
	v_lshl_add_u64 v[6:7], v[10:11], 3, s[10:11]
	global_load_dwordx2 v[6:7], v[6:7], off
	v_mov_b64_e32 v[10:11], 0
	s_waitcnt vmcnt(1)
	v_cmp_lt_i32_e32 vcc, v12, v5
	s_and_b64 s[2:3], s[0:1], vcc
	s_and_saveexec_b64 s[34:35], s[2:3]
	s_cbranch_execz .LBB29_13
; %bb.8:                                ;   in Loop: Header=BB29_7 Depth=2
	v_subrev_u32_e32 v5, s38, v5
	v_subrev_u32_e32 v12, s38, v12
	v_mov_b64_e32 v[10:11], 0
	s_mov_b64 s[36:37], 0
	v_mov_b32_e32 v14, v19
	s_branch .LBB29_10
.LBB29_9:                               ;   in Loop: Header=BB29_10 Depth=3
	s_or_b64 exec, exec, s[2:3]
	v_cmp_le_i32_e32 vcc, v20, v21
	s_nop 1
	v_addc_co_u32_e32 v14, vcc, 0, v14, vcc
	v_cmp_ge_i32_e32 vcc, v20, v21
	s_nop 1
	v_addc_co_u32_e32 v12, vcc, 0, v12, vcc
	v_cmp_ge_i32_e32 vcc, v14, v18
	v_cmp_ge_i32_e64 s[2:3], v12, v5
	s_or_b64 s[2:3], vcc, s[2:3]
	s_and_b64 s[2:3], exec, s[2:3]
	s_or_b64 s[36:37], s[2:3], s[36:37]
	s_andn2_b64 exec, exec, s[36:37]
	s_cbranch_execz .LBB29_12
.LBB29_10:                              ;   Parent Loop BB29_3 Depth=1
                                        ;     Parent Loop BB29_7 Depth=2
                                        ; =>    This Inner Loop Header: Depth=3
	v_ashrrev_i32_e32 v15, 31, v14
	v_ashrrev_i32_e32 v13, 31, v12
	v_lshl_add_u64 v[20:21], v[14:15], 2, s[16:17]
	v_lshl_add_u64 v[22:23], v[12:13], 2, s[6:7]
	global_load_dword v20, v[20:21], off
	s_nop 0
	global_load_dword v21, v[22:23], off
	s_waitcnt vmcnt(0)
	v_cmp_eq_u32_e32 vcc, v20, v21
	s_and_saveexec_b64 s[2:3], vcc
	s_cbranch_execz .LBB29_9
; %bb.11:                               ;   in Loop: Header=BB29_10 Depth=3
	v_lshl_add_u64 v[22:23], v[12:13], 2, s[8:9]
	global_load_dword v22, v[22:23], off
	v_lshl_add_u64 v[24:25], v[14:15], 3, s[10:11]
	global_load_dwordx2 v[24:25], v[24:25], off
	s_waitcnt vmcnt(1)
	v_ashrrev_i32_e32 v23, 31, v22
	v_lshl_add_u64 v[22:23], v[22:23], 3, s[10:11]
	global_load_dwordx2 v[22:23], v[22:23], off
	s_waitcnt vmcnt(0)
	v_fmac_f64_e32 v[10:11], v[24:25], v[22:23]
	s_branch .LBB29_9
.LBB29_12:                              ;   in Loop: Header=BB29_7 Depth=2
	s_or_b64 exec, exec, s[36:37]
.LBB29_13:                              ;   in Loop: Header=BB29_7 Depth=2
	s_or_b64 exec, exec, s[34:35]
	v_add_f64 v[8:9], v[8:9], -v[10:11]
	s_waitcnt vmcnt(0)
	v_div_scale_f64 v[10:11], s[2:3], v[6:7], v[6:7], v[8:9]
	v_rcp_f64_e32 v[12:13], v[10:11]
	v_div_scale_f64 v[14:15], vcc, v[8:9], v[6:7], v[8:9]
	v_fma_f64 v[20:21], -v[10:11], v[12:13], 1.0
	v_fmac_f64_e32 v[12:13], v[12:13], v[20:21]
	v_fma_f64 v[20:21], -v[10:11], v[12:13], 1.0
	v_fmac_f64_e32 v[12:13], v[12:13], v[20:21]
	v_mul_f64 v[20:21], v[14:15], v[12:13]
	v_fma_f64 v[10:11], -v[10:11], v[20:21], v[14:15]
	v_div_fmas_f64 v[10:11], v[10:11], v[12:13], v[20:21]
	v_div_fixup_f64 v[6:7], v[10:11], v[6:7], v[8:9]
	v_cmp_gt_i32_e32 vcc, v0, v4
	s_nop 1
	v_cndmask_b32_e32 v5, v9, v7, vcc
	v_cndmask_b32_e32 v4, v8, v6, vcc
	v_cmp_class_f64_e64 s[34:35], v[4:5], s40
	s_and_saveexec_b64 s[2:3], s[34:35]
	s_cbranch_execz .LBB29_6
; %bb.14:                               ;   in Loop: Header=BB29_7 Depth=2
	v_lshl_add_u64 v[6:7], v[2:3], 3, s[10:11]
	global_store_dwordx2 v[6:7], v[4:5], off
	s_branch .LBB29_6
.LBB29_15:
	s_endpgm
	.section	.rodata,"a",@progbits
	.p2align	6, 0x0
	.amdhsa_kernel _ZN9rocsparseL16kernel_calculateILi1024ELi4ELb0EdiiEEvT4_T3_PKS2_S4_PKS1_PKT2_21rocsparse_index_base_S4_S4_S6_S4_S4_S6_S4_PS7_PNS_15floating_traitsIS7_E6data_tEPKSE_
		.amdhsa_group_segment_fixed_size 0
		.amdhsa_private_segment_fixed_size 0
		.amdhsa_kernarg_size 128
		.amdhsa_user_sgpr_count 2
		.amdhsa_user_sgpr_dispatch_ptr 0
		.amdhsa_user_sgpr_queue_ptr 0
		.amdhsa_user_sgpr_kernarg_segment_ptr 1
		.amdhsa_user_sgpr_dispatch_id 0
		.amdhsa_user_sgpr_kernarg_preload_length 0
		.amdhsa_user_sgpr_kernarg_preload_offset 0
		.amdhsa_user_sgpr_private_segment_size 0
		.amdhsa_uses_dynamic_stack 0
		.amdhsa_enable_private_segment 0
		.amdhsa_system_sgpr_workgroup_id_x 1
		.amdhsa_system_sgpr_workgroup_id_y 0
		.amdhsa_system_sgpr_workgroup_id_z 0
		.amdhsa_system_sgpr_workgroup_info 0
		.amdhsa_system_vgpr_workitem_id 0
		.amdhsa_next_free_vgpr 26
		.amdhsa_next_free_sgpr 41
		.amdhsa_accum_offset 28
		.amdhsa_reserve_vcc 1
		.amdhsa_float_round_mode_32 0
		.amdhsa_float_round_mode_16_64 0
		.amdhsa_float_denorm_mode_32 3
		.amdhsa_float_denorm_mode_16_64 3
		.amdhsa_dx10_clamp 1
		.amdhsa_ieee_mode 1
		.amdhsa_fp16_overflow 0
		.amdhsa_tg_split 0
		.amdhsa_exception_fp_ieee_invalid_op 0
		.amdhsa_exception_fp_denorm_src 0
		.amdhsa_exception_fp_ieee_div_zero 0
		.amdhsa_exception_fp_ieee_overflow 0
		.amdhsa_exception_fp_ieee_underflow 0
		.amdhsa_exception_fp_ieee_inexact 0
		.amdhsa_exception_int_div_zero 0
	.end_amdhsa_kernel
	.section	.text._ZN9rocsparseL16kernel_calculateILi1024ELi4ELb0EdiiEEvT4_T3_PKS2_S4_PKS1_PKT2_21rocsparse_index_base_S4_S4_S6_S4_S4_S6_S4_PS7_PNS_15floating_traitsIS7_E6data_tEPKSE_,"axG",@progbits,_ZN9rocsparseL16kernel_calculateILi1024ELi4ELb0EdiiEEvT4_T3_PKS2_S4_PKS1_PKT2_21rocsparse_index_base_S4_S4_S6_S4_S4_S6_S4_PS7_PNS_15floating_traitsIS7_E6data_tEPKSE_,comdat
.Lfunc_end29:
	.size	_ZN9rocsparseL16kernel_calculateILi1024ELi4ELb0EdiiEEvT4_T3_PKS2_S4_PKS1_PKT2_21rocsparse_index_base_S4_S4_S6_S4_S4_S6_S4_PS7_PNS_15floating_traitsIS7_E6data_tEPKSE_, .Lfunc_end29-_ZN9rocsparseL16kernel_calculateILi1024ELi4ELb0EdiiEEvT4_T3_PKS2_S4_PKS1_PKT2_21rocsparse_index_base_S4_S4_S6_S4_S4_S6_S4_PS7_PNS_15floating_traitsIS7_E6data_tEPKSE_
                                        ; -- End function
	.set _ZN9rocsparseL16kernel_calculateILi1024ELi4ELb0EdiiEEvT4_T3_PKS2_S4_PKS1_PKT2_21rocsparse_index_base_S4_S4_S6_S4_S4_S6_S4_PS7_PNS_15floating_traitsIS7_E6data_tEPKSE_.num_vgpr, 26
	.set _ZN9rocsparseL16kernel_calculateILi1024ELi4ELb0EdiiEEvT4_T3_PKS2_S4_PKS1_PKT2_21rocsparse_index_base_S4_S4_S6_S4_S4_S6_S4_PS7_PNS_15floating_traitsIS7_E6data_tEPKSE_.num_agpr, 0
	.set _ZN9rocsparseL16kernel_calculateILi1024ELi4ELb0EdiiEEvT4_T3_PKS2_S4_PKS1_PKT2_21rocsparse_index_base_S4_S4_S6_S4_S4_S6_S4_PS7_PNS_15floating_traitsIS7_E6data_tEPKSE_.numbered_sgpr, 41
	.set _ZN9rocsparseL16kernel_calculateILi1024ELi4ELb0EdiiEEvT4_T3_PKS2_S4_PKS1_PKT2_21rocsparse_index_base_S4_S4_S6_S4_S4_S6_S4_PS7_PNS_15floating_traitsIS7_E6data_tEPKSE_.num_named_barrier, 0
	.set _ZN9rocsparseL16kernel_calculateILi1024ELi4ELb0EdiiEEvT4_T3_PKS2_S4_PKS1_PKT2_21rocsparse_index_base_S4_S4_S6_S4_S4_S6_S4_PS7_PNS_15floating_traitsIS7_E6data_tEPKSE_.private_seg_size, 0
	.set _ZN9rocsparseL16kernel_calculateILi1024ELi4ELb0EdiiEEvT4_T3_PKS2_S4_PKS1_PKT2_21rocsparse_index_base_S4_S4_S6_S4_S4_S6_S4_PS7_PNS_15floating_traitsIS7_E6data_tEPKSE_.uses_vcc, 1
	.set _ZN9rocsparseL16kernel_calculateILi1024ELi4ELb0EdiiEEvT4_T3_PKS2_S4_PKS1_PKT2_21rocsparse_index_base_S4_S4_S6_S4_S4_S6_S4_PS7_PNS_15floating_traitsIS7_E6data_tEPKSE_.uses_flat_scratch, 0
	.set _ZN9rocsparseL16kernel_calculateILi1024ELi4ELb0EdiiEEvT4_T3_PKS2_S4_PKS1_PKT2_21rocsparse_index_base_S4_S4_S6_S4_S4_S6_S4_PS7_PNS_15floating_traitsIS7_E6data_tEPKSE_.has_dyn_sized_stack, 0
	.set _ZN9rocsparseL16kernel_calculateILi1024ELi4ELb0EdiiEEvT4_T3_PKS2_S4_PKS1_PKT2_21rocsparse_index_base_S4_S4_S6_S4_S4_S6_S4_PS7_PNS_15floating_traitsIS7_E6data_tEPKSE_.has_recursion, 0
	.set _ZN9rocsparseL16kernel_calculateILi1024ELi4ELb0EdiiEEvT4_T3_PKS2_S4_PKS1_PKT2_21rocsparse_index_base_S4_S4_S6_S4_S4_S6_S4_PS7_PNS_15floating_traitsIS7_E6data_tEPKSE_.has_indirect_call, 0
	.section	.AMDGPU.csdata,"",@progbits
; Kernel info:
; codeLenInByte = 808
; TotalNumSgprs: 47
; NumVgprs: 26
; NumAgprs: 0
; TotalNumVgprs: 26
; ScratchSize: 0
; MemoryBound: 1
; FloatMode: 240
; IeeeMode: 1
; LDSByteSize: 0 bytes/workgroup (compile time only)
; SGPRBlocks: 5
; VGPRBlocks: 3
; NumSGPRsForWavesPerEU: 47
; NumVGPRsForWavesPerEU: 26
; AccumOffset: 28
; Occupancy: 8
; WaveLimiterHint : 1
; COMPUTE_PGM_RSRC2:SCRATCH_EN: 0
; COMPUTE_PGM_RSRC2:USER_SGPR: 2
; COMPUTE_PGM_RSRC2:TRAP_HANDLER: 0
; COMPUTE_PGM_RSRC2:TGID_X_EN: 1
; COMPUTE_PGM_RSRC2:TGID_Y_EN: 0
; COMPUTE_PGM_RSRC2:TGID_Z_EN: 0
; COMPUTE_PGM_RSRC2:TIDIG_COMP_CNT: 0
; COMPUTE_PGM_RSRC3_GFX90A:ACCUM_OFFSET: 6
; COMPUTE_PGM_RSRC3_GFX90A:TG_SPLIT: 0
	.section	.text._ZN9rocsparseL16kernel_calculateILi1024ELi8ELb0EdiiEEvT4_T3_PKS2_S4_PKS1_PKT2_21rocsparse_index_base_S4_S4_S6_S4_S4_S6_S4_PS7_PNS_15floating_traitsIS7_E6data_tEPKSE_,"axG",@progbits,_ZN9rocsparseL16kernel_calculateILi1024ELi8ELb0EdiiEEvT4_T3_PKS2_S4_PKS1_PKT2_21rocsparse_index_base_S4_S4_S6_S4_S4_S6_S4_PS7_PNS_15floating_traitsIS7_E6data_tEPKSE_,comdat
	.globl	_ZN9rocsparseL16kernel_calculateILi1024ELi8ELb0EdiiEEvT4_T3_PKS2_S4_PKS1_PKT2_21rocsparse_index_base_S4_S4_S6_S4_S4_S6_S4_PS7_PNS_15floating_traitsIS7_E6data_tEPKSE_ ; -- Begin function _ZN9rocsparseL16kernel_calculateILi1024ELi8ELb0EdiiEEvT4_T3_PKS2_S4_PKS1_PKT2_21rocsparse_index_base_S4_S4_S6_S4_S4_S6_S4_PS7_PNS_15floating_traitsIS7_E6data_tEPKSE_
	.p2align	8
	.type	_ZN9rocsparseL16kernel_calculateILi1024ELi8ELb0EdiiEEvT4_T3_PKS2_S4_PKS1_PKT2_21rocsparse_index_base_S4_S4_S6_S4_S4_S6_S4_PS7_PNS_15floating_traitsIS7_E6data_tEPKSE_,@function
_ZN9rocsparseL16kernel_calculateILi1024ELi8ELb0EdiiEEvT4_T3_PKS2_S4_PKS1_PKT2_21rocsparse_index_base_S4_S4_S6_S4_S4_S6_S4_PS7_PNS_15floating_traitsIS7_E6data_tEPKSE_: ; @_ZN9rocsparseL16kernel_calculateILi1024ELi8ELb0EdiiEEvT4_T3_PKS2_S4_PKS1_PKT2_21rocsparse_index_base_S4_S4_S6_S4_S4_S6_S4_PS7_PNS_15floating_traitsIS7_E6data_tEPKSE_
; %bb.0:
	s_load_dword s33, s[0:1], 0x0
	v_lshrrev_b32_e32 v1, 3, v0
	v_lshl_or_b32 v16, s2, 10, v1
	s_waitcnt lgkmcnt(0)
	v_cmp_gt_i32_e32 vcc, s33, v16
	s_and_saveexec_b64 s[2:3], vcc
	s_cbranch_execz .LBB30_15
; %bb.1:
	s_load_dword s38, s[0:1], 0x28
	s_load_dwordx8 s[4:11], s[0:1], 0x50
	s_load_dwordx8 s[12:19], s[0:1], 0x30
	;; [unrolled: 1-line block ×3, first 2 shown]
	v_and_b32_e32 v0, 7, v0
	s_waitcnt lgkmcnt(0)
	v_subrev_u32_e32 v17, s38, v0
	s_mov_b32 s39, 0
	s_movk_i32 s40, 0x1f8
	s_branch .LBB30_3
.LBB30_2:                               ;   in Loop: Header=BB30_3 Depth=1
	s_or_b64 exec, exec, s[28:29]
	s_add_i32 s39, s39, 1
	s_cmp_lg_u32 s39, 8
	s_cbranch_scc0 .LBB30_15
.LBB30_3:                               ; =>This Loop Header: Depth=1
                                        ;     Child Loop BB30_7 Depth 2
                                        ;       Child Loop BB30_10 Depth 3
	v_lshl_add_u32 v0, s39, 7, v16
	v_cmp_gt_i32_e32 vcc, s33, v0
	s_and_saveexec_b64 s[28:29], vcc
	s_cbranch_execz .LBB30_2
; %bb.4:                                ;   in Loop: Header=BB30_3 Depth=1
	v_ashrrev_i32_e32 v1, 31, v0
	v_lshlrev_b64 v[4:5], 2, v[0:1]
	v_lshl_add_u64 v[2:3], s[22:23], 0, v[4:5]
	global_load_dword v1, v[2:3], off
	v_lshl_add_u64 v[2:3], s[20:21], 0, v[4:5]
	global_load_dword v2, v[2:3], off
	s_waitcnt vmcnt(1)
	v_subrev_u32_e32 v1, s38, v1
	s_waitcnt vmcnt(0)
	v_add_u32_e32 v2, v17, v2
	v_cmp_lt_i32_e32 vcc, v2, v1
	s_and_b64 exec, exec, vcc
	s_cbranch_execz .LBB30_2
; %bb.5:                                ;   in Loop: Header=BB30_3 Depth=1
	v_lshl_add_u64 v[6:7], s[14:15], 0, v[4:5]
	v_lshl_add_u64 v[4:5], s[12:13], 0, v[4:5]
	global_load_dword v3, v[6:7], off
	s_mov_b64 s[30:31], 0
	global_load_dword v4, v[4:5], off
	s_waitcnt vmcnt(1)
	v_subrev_u32_e32 v18, s38, v3
	s_waitcnt vmcnt(0)
	v_cmp_lt_i32_e64 s[0:1], v4, v3
	v_subrev_u32_e32 v19, s38, v4
	s_branch .LBB30_7
.LBB30_6:                               ;   in Loop: Header=BB30_7 Depth=2
	s_or_b64 exec, exec, s[2:3]
	v_add_u32_e32 v2, 8, v2
	v_cmp_ge_i32_e32 vcc, v2, v1
	s_or_b64 s[30:31], vcc, s[30:31]
	s_andn2_b64 exec, exec, s[30:31]
	s_cbranch_execz .LBB30_2
.LBB30_7:                               ;   Parent Loop BB30_3 Depth=1
                                        ; =>  This Loop Header: Depth=2
                                        ;       Child Loop BB30_10 Depth 3
	v_ashrrev_i32_e32 v3, 31, v2
	v_lshl_add_u64 v[4:5], v[2:3], 2, s[24:25]
	global_load_dword v4, v[4:5], off
	s_waitcnt vmcnt(0)
	v_subrev_u32_e32 v4, s38, v4
	v_ashrrev_i32_e32 v5, 31, v4
	v_lshlrev_b64 v[6:7], 2, v[4:5]
	v_lshl_add_u64 v[8:9], s[14:15], 0, v[6:7]
	global_load_dword v12, v[8:9], off
	v_lshl_add_u64 v[10:11], s[4:5], 0, v[6:7]
	v_lshl_add_u64 v[6:7], s[18:19], 0, v[6:7]
	global_load_dword v5, v[10:11], off
	v_lshl_add_u64 v[8:9], v[2:3], 3, s[26:27]
	global_load_dwordx2 v[8:9], v[8:9], off
	s_waitcnt vmcnt(2)
	v_subrev_u32_e32 v10, s38, v12
	global_load_dword v12, v[6:7], off
	v_ashrrev_i32_e32 v11, 31, v10
	v_lshl_add_u64 v[6:7], v[10:11], 3, s[10:11]
	global_load_dwordx2 v[6:7], v[6:7], off
	v_mov_b64_e32 v[10:11], 0
	s_waitcnt vmcnt(1)
	v_cmp_lt_i32_e32 vcc, v12, v5
	s_and_b64 s[2:3], s[0:1], vcc
	s_and_saveexec_b64 s[34:35], s[2:3]
	s_cbranch_execz .LBB30_13
; %bb.8:                                ;   in Loop: Header=BB30_7 Depth=2
	v_subrev_u32_e32 v5, s38, v5
	v_subrev_u32_e32 v12, s38, v12
	v_mov_b64_e32 v[10:11], 0
	s_mov_b64 s[36:37], 0
	v_mov_b32_e32 v14, v19
	s_branch .LBB30_10
.LBB30_9:                               ;   in Loop: Header=BB30_10 Depth=3
	s_or_b64 exec, exec, s[2:3]
	v_cmp_le_i32_e32 vcc, v20, v21
	s_nop 1
	v_addc_co_u32_e32 v14, vcc, 0, v14, vcc
	v_cmp_ge_i32_e32 vcc, v20, v21
	s_nop 1
	v_addc_co_u32_e32 v12, vcc, 0, v12, vcc
	v_cmp_ge_i32_e32 vcc, v14, v18
	v_cmp_ge_i32_e64 s[2:3], v12, v5
	s_or_b64 s[2:3], vcc, s[2:3]
	s_and_b64 s[2:3], exec, s[2:3]
	s_or_b64 s[36:37], s[2:3], s[36:37]
	s_andn2_b64 exec, exec, s[36:37]
	s_cbranch_execz .LBB30_12
.LBB30_10:                              ;   Parent Loop BB30_3 Depth=1
                                        ;     Parent Loop BB30_7 Depth=2
                                        ; =>    This Inner Loop Header: Depth=3
	v_ashrrev_i32_e32 v15, 31, v14
	v_ashrrev_i32_e32 v13, 31, v12
	v_lshl_add_u64 v[20:21], v[14:15], 2, s[16:17]
	v_lshl_add_u64 v[22:23], v[12:13], 2, s[6:7]
	global_load_dword v20, v[20:21], off
	s_nop 0
	global_load_dword v21, v[22:23], off
	s_waitcnt vmcnt(0)
	v_cmp_eq_u32_e32 vcc, v20, v21
	s_and_saveexec_b64 s[2:3], vcc
	s_cbranch_execz .LBB30_9
; %bb.11:                               ;   in Loop: Header=BB30_10 Depth=3
	v_lshl_add_u64 v[22:23], v[12:13], 2, s[8:9]
	global_load_dword v22, v[22:23], off
	v_lshl_add_u64 v[24:25], v[14:15], 3, s[10:11]
	global_load_dwordx2 v[24:25], v[24:25], off
	s_waitcnt vmcnt(1)
	v_ashrrev_i32_e32 v23, 31, v22
	v_lshl_add_u64 v[22:23], v[22:23], 3, s[10:11]
	global_load_dwordx2 v[22:23], v[22:23], off
	s_waitcnt vmcnt(0)
	v_fmac_f64_e32 v[10:11], v[24:25], v[22:23]
	s_branch .LBB30_9
.LBB30_12:                              ;   in Loop: Header=BB30_7 Depth=2
	s_or_b64 exec, exec, s[36:37]
.LBB30_13:                              ;   in Loop: Header=BB30_7 Depth=2
	s_or_b64 exec, exec, s[34:35]
	v_add_f64 v[8:9], v[8:9], -v[10:11]
	s_waitcnt vmcnt(0)
	v_div_scale_f64 v[10:11], s[2:3], v[6:7], v[6:7], v[8:9]
	v_rcp_f64_e32 v[12:13], v[10:11]
	v_div_scale_f64 v[14:15], vcc, v[8:9], v[6:7], v[8:9]
	v_fma_f64 v[20:21], -v[10:11], v[12:13], 1.0
	v_fmac_f64_e32 v[12:13], v[12:13], v[20:21]
	v_fma_f64 v[20:21], -v[10:11], v[12:13], 1.0
	v_fmac_f64_e32 v[12:13], v[12:13], v[20:21]
	v_mul_f64 v[20:21], v[14:15], v[12:13]
	v_fma_f64 v[10:11], -v[10:11], v[20:21], v[14:15]
	v_div_fmas_f64 v[10:11], v[10:11], v[12:13], v[20:21]
	v_div_fixup_f64 v[6:7], v[10:11], v[6:7], v[8:9]
	v_cmp_gt_i32_e32 vcc, v0, v4
	s_nop 1
	v_cndmask_b32_e32 v5, v9, v7, vcc
	v_cndmask_b32_e32 v4, v8, v6, vcc
	v_cmp_class_f64_e64 s[34:35], v[4:5], s40
	s_and_saveexec_b64 s[2:3], s[34:35]
	s_cbranch_execz .LBB30_6
; %bb.14:                               ;   in Loop: Header=BB30_7 Depth=2
	v_lshl_add_u64 v[6:7], v[2:3], 3, s[10:11]
	global_store_dwordx2 v[6:7], v[4:5], off
	s_branch .LBB30_6
.LBB30_15:
	s_endpgm
	.section	.rodata,"a",@progbits
	.p2align	6, 0x0
	.amdhsa_kernel _ZN9rocsparseL16kernel_calculateILi1024ELi8ELb0EdiiEEvT4_T3_PKS2_S4_PKS1_PKT2_21rocsparse_index_base_S4_S4_S6_S4_S4_S6_S4_PS7_PNS_15floating_traitsIS7_E6data_tEPKSE_
		.amdhsa_group_segment_fixed_size 0
		.amdhsa_private_segment_fixed_size 0
		.amdhsa_kernarg_size 128
		.amdhsa_user_sgpr_count 2
		.amdhsa_user_sgpr_dispatch_ptr 0
		.amdhsa_user_sgpr_queue_ptr 0
		.amdhsa_user_sgpr_kernarg_segment_ptr 1
		.amdhsa_user_sgpr_dispatch_id 0
		.amdhsa_user_sgpr_kernarg_preload_length 0
		.amdhsa_user_sgpr_kernarg_preload_offset 0
		.amdhsa_user_sgpr_private_segment_size 0
		.amdhsa_uses_dynamic_stack 0
		.amdhsa_enable_private_segment 0
		.amdhsa_system_sgpr_workgroup_id_x 1
		.amdhsa_system_sgpr_workgroup_id_y 0
		.amdhsa_system_sgpr_workgroup_id_z 0
		.amdhsa_system_sgpr_workgroup_info 0
		.amdhsa_system_vgpr_workitem_id 0
		.amdhsa_next_free_vgpr 26
		.amdhsa_next_free_sgpr 41
		.amdhsa_accum_offset 28
		.amdhsa_reserve_vcc 1
		.amdhsa_float_round_mode_32 0
		.amdhsa_float_round_mode_16_64 0
		.amdhsa_float_denorm_mode_32 3
		.amdhsa_float_denorm_mode_16_64 3
		.amdhsa_dx10_clamp 1
		.amdhsa_ieee_mode 1
		.amdhsa_fp16_overflow 0
		.amdhsa_tg_split 0
		.amdhsa_exception_fp_ieee_invalid_op 0
		.amdhsa_exception_fp_denorm_src 0
		.amdhsa_exception_fp_ieee_div_zero 0
		.amdhsa_exception_fp_ieee_overflow 0
		.amdhsa_exception_fp_ieee_underflow 0
		.amdhsa_exception_fp_ieee_inexact 0
		.amdhsa_exception_int_div_zero 0
	.end_amdhsa_kernel
	.section	.text._ZN9rocsparseL16kernel_calculateILi1024ELi8ELb0EdiiEEvT4_T3_PKS2_S4_PKS1_PKT2_21rocsparse_index_base_S4_S4_S6_S4_S4_S6_S4_PS7_PNS_15floating_traitsIS7_E6data_tEPKSE_,"axG",@progbits,_ZN9rocsparseL16kernel_calculateILi1024ELi8ELb0EdiiEEvT4_T3_PKS2_S4_PKS1_PKT2_21rocsparse_index_base_S4_S4_S6_S4_S4_S6_S4_PS7_PNS_15floating_traitsIS7_E6data_tEPKSE_,comdat
.Lfunc_end30:
	.size	_ZN9rocsparseL16kernel_calculateILi1024ELi8ELb0EdiiEEvT4_T3_PKS2_S4_PKS1_PKT2_21rocsparse_index_base_S4_S4_S6_S4_S4_S6_S4_PS7_PNS_15floating_traitsIS7_E6data_tEPKSE_, .Lfunc_end30-_ZN9rocsparseL16kernel_calculateILi1024ELi8ELb0EdiiEEvT4_T3_PKS2_S4_PKS1_PKT2_21rocsparse_index_base_S4_S4_S6_S4_S4_S6_S4_PS7_PNS_15floating_traitsIS7_E6data_tEPKSE_
                                        ; -- End function
	.set _ZN9rocsparseL16kernel_calculateILi1024ELi8ELb0EdiiEEvT4_T3_PKS2_S4_PKS1_PKT2_21rocsparse_index_base_S4_S4_S6_S4_S4_S6_S4_PS7_PNS_15floating_traitsIS7_E6data_tEPKSE_.num_vgpr, 26
	.set _ZN9rocsparseL16kernel_calculateILi1024ELi8ELb0EdiiEEvT4_T3_PKS2_S4_PKS1_PKT2_21rocsparse_index_base_S4_S4_S6_S4_S4_S6_S4_PS7_PNS_15floating_traitsIS7_E6data_tEPKSE_.num_agpr, 0
	.set _ZN9rocsparseL16kernel_calculateILi1024ELi8ELb0EdiiEEvT4_T3_PKS2_S4_PKS1_PKT2_21rocsparse_index_base_S4_S4_S6_S4_S4_S6_S4_PS7_PNS_15floating_traitsIS7_E6data_tEPKSE_.numbered_sgpr, 41
	.set _ZN9rocsparseL16kernel_calculateILi1024ELi8ELb0EdiiEEvT4_T3_PKS2_S4_PKS1_PKT2_21rocsparse_index_base_S4_S4_S6_S4_S4_S6_S4_PS7_PNS_15floating_traitsIS7_E6data_tEPKSE_.num_named_barrier, 0
	.set _ZN9rocsparseL16kernel_calculateILi1024ELi8ELb0EdiiEEvT4_T3_PKS2_S4_PKS1_PKT2_21rocsparse_index_base_S4_S4_S6_S4_S4_S6_S4_PS7_PNS_15floating_traitsIS7_E6data_tEPKSE_.private_seg_size, 0
	.set _ZN9rocsparseL16kernel_calculateILi1024ELi8ELb0EdiiEEvT4_T3_PKS2_S4_PKS1_PKT2_21rocsparse_index_base_S4_S4_S6_S4_S4_S6_S4_PS7_PNS_15floating_traitsIS7_E6data_tEPKSE_.uses_vcc, 1
	.set _ZN9rocsparseL16kernel_calculateILi1024ELi8ELb0EdiiEEvT4_T3_PKS2_S4_PKS1_PKT2_21rocsparse_index_base_S4_S4_S6_S4_S4_S6_S4_PS7_PNS_15floating_traitsIS7_E6data_tEPKSE_.uses_flat_scratch, 0
	.set _ZN9rocsparseL16kernel_calculateILi1024ELi8ELb0EdiiEEvT4_T3_PKS2_S4_PKS1_PKT2_21rocsparse_index_base_S4_S4_S6_S4_S4_S6_S4_PS7_PNS_15floating_traitsIS7_E6data_tEPKSE_.has_dyn_sized_stack, 0
	.set _ZN9rocsparseL16kernel_calculateILi1024ELi8ELb0EdiiEEvT4_T3_PKS2_S4_PKS1_PKT2_21rocsparse_index_base_S4_S4_S6_S4_S4_S6_S4_PS7_PNS_15floating_traitsIS7_E6data_tEPKSE_.has_recursion, 0
	.set _ZN9rocsparseL16kernel_calculateILi1024ELi8ELb0EdiiEEvT4_T3_PKS2_S4_PKS1_PKT2_21rocsparse_index_base_S4_S4_S6_S4_S4_S6_S4_PS7_PNS_15floating_traitsIS7_E6data_tEPKSE_.has_indirect_call, 0
	.section	.AMDGPU.csdata,"",@progbits
; Kernel info:
; codeLenInByte = 808
; TotalNumSgprs: 47
; NumVgprs: 26
; NumAgprs: 0
; TotalNumVgprs: 26
; ScratchSize: 0
; MemoryBound: 1
; FloatMode: 240
; IeeeMode: 1
; LDSByteSize: 0 bytes/workgroup (compile time only)
; SGPRBlocks: 5
; VGPRBlocks: 3
; NumSGPRsForWavesPerEU: 47
; NumVGPRsForWavesPerEU: 26
; AccumOffset: 28
; Occupancy: 8
; WaveLimiterHint : 1
; COMPUTE_PGM_RSRC2:SCRATCH_EN: 0
; COMPUTE_PGM_RSRC2:USER_SGPR: 2
; COMPUTE_PGM_RSRC2:TRAP_HANDLER: 0
; COMPUTE_PGM_RSRC2:TGID_X_EN: 1
; COMPUTE_PGM_RSRC2:TGID_Y_EN: 0
; COMPUTE_PGM_RSRC2:TGID_Z_EN: 0
; COMPUTE_PGM_RSRC2:TIDIG_COMP_CNT: 0
; COMPUTE_PGM_RSRC3_GFX90A:ACCUM_OFFSET: 6
; COMPUTE_PGM_RSRC3_GFX90A:TG_SPLIT: 0
	.section	.text._ZN9rocsparseL16kernel_calculateILi1024ELi16ELb0EdiiEEvT4_T3_PKS2_S4_PKS1_PKT2_21rocsparse_index_base_S4_S4_S6_S4_S4_S6_S4_PS7_PNS_15floating_traitsIS7_E6data_tEPKSE_,"axG",@progbits,_ZN9rocsparseL16kernel_calculateILi1024ELi16ELb0EdiiEEvT4_T3_PKS2_S4_PKS1_PKT2_21rocsparse_index_base_S4_S4_S6_S4_S4_S6_S4_PS7_PNS_15floating_traitsIS7_E6data_tEPKSE_,comdat
	.globl	_ZN9rocsparseL16kernel_calculateILi1024ELi16ELb0EdiiEEvT4_T3_PKS2_S4_PKS1_PKT2_21rocsparse_index_base_S4_S4_S6_S4_S4_S6_S4_PS7_PNS_15floating_traitsIS7_E6data_tEPKSE_ ; -- Begin function _ZN9rocsparseL16kernel_calculateILi1024ELi16ELb0EdiiEEvT4_T3_PKS2_S4_PKS1_PKT2_21rocsparse_index_base_S4_S4_S6_S4_S4_S6_S4_PS7_PNS_15floating_traitsIS7_E6data_tEPKSE_
	.p2align	8
	.type	_ZN9rocsparseL16kernel_calculateILi1024ELi16ELb0EdiiEEvT4_T3_PKS2_S4_PKS1_PKT2_21rocsparse_index_base_S4_S4_S6_S4_S4_S6_S4_PS7_PNS_15floating_traitsIS7_E6data_tEPKSE_,@function
_ZN9rocsparseL16kernel_calculateILi1024ELi16ELb0EdiiEEvT4_T3_PKS2_S4_PKS1_PKT2_21rocsparse_index_base_S4_S4_S6_S4_S4_S6_S4_PS7_PNS_15floating_traitsIS7_E6data_tEPKSE_: ; @_ZN9rocsparseL16kernel_calculateILi1024ELi16ELb0EdiiEEvT4_T3_PKS2_S4_PKS1_PKT2_21rocsparse_index_base_S4_S4_S6_S4_S4_S6_S4_PS7_PNS_15floating_traitsIS7_E6data_tEPKSE_
; %bb.0:
	s_load_dword s33, s[0:1], 0x0
	v_lshrrev_b32_e32 v1, 4, v0
	v_lshl_or_b32 v16, s2, 10, v1
	s_waitcnt lgkmcnt(0)
	v_cmp_gt_i32_e32 vcc, s33, v16
	s_and_saveexec_b64 s[2:3], vcc
	s_cbranch_execz .LBB31_15
; %bb.1:
	s_load_dword s38, s[0:1], 0x28
	s_load_dwordx8 s[4:11], s[0:1], 0x50
	s_load_dwordx8 s[12:19], s[0:1], 0x30
	;; [unrolled: 1-line block ×3, first 2 shown]
	v_and_b32_e32 v0, 15, v0
	s_waitcnt lgkmcnt(0)
	v_subrev_u32_e32 v17, s38, v0
	s_mov_b32 s39, 0
	s_movk_i32 s40, 0x1f8
	s_branch .LBB31_3
.LBB31_2:                               ;   in Loop: Header=BB31_3 Depth=1
	s_or_b64 exec, exec, s[28:29]
	s_add_i32 s39, s39, 1
	s_cmp_lg_u32 s39, 16
	s_cbranch_scc0 .LBB31_15
.LBB31_3:                               ; =>This Loop Header: Depth=1
                                        ;     Child Loop BB31_7 Depth 2
                                        ;       Child Loop BB31_10 Depth 3
	v_lshl_add_u32 v0, s39, 6, v16
	v_cmp_gt_i32_e32 vcc, s33, v0
	s_and_saveexec_b64 s[28:29], vcc
	s_cbranch_execz .LBB31_2
; %bb.4:                                ;   in Loop: Header=BB31_3 Depth=1
	v_ashrrev_i32_e32 v1, 31, v0
	v_lshlrev_b64 v[4:5], 2, v[0:1]
	v_lshl_add_u64 v[2:3], s[22:23], 0, v[4:5]
	global_load_dword v1, v[2:3], off
	v_lshl_add_u64 v[2:3], s[20:21], 0, v[4:5]
	global_load_dword v2, v[2:3], off
	s_waitcnt vmcnt(1)
	v_subrev_u32_e32 v1, s38, v1
	s_waitcnt vmcnt(0)
	v_add_u32_e32 v2, v17, v2
	v_cmp_lt_i32_e32 vcc, v2, v1
	s_and_b64 exec, exec, vcc
	s_cbranch_execz .LBB31_2
; %bb.5:                                ;   in Loop: Header=BB31_3 Depth=1
	v_lshl_add_u64 v[6:7], s[14:15], 0, v[4:5]
	v_lshl_add_u64 v[4:5], s[12:13], 0, v[4:5]
	global_load_dword v3, v[6:7], off
	s_mov_b64 s[30:31], 0
	global_load_dword v4, v[4:5], off
	s_waitcnt vmcnt(1)
	v_subrev_u32_e32 v18, s38, v3
	s_waitcnt vmcnt(0)
	v_cmp_lt_i32_e64 s[0:1], v4, v3
	v_subrev_u32_e32 v19, s38, v4
	s_branch .LBB31_7
.LBB31_6:                               ;   in Loop: Header=BB31_7 Depth=2
	s_or_b64 exec, exec, s[2:3]
	v_add_u32_e32 v2, 16, v2
	v_cmp_ge_i32_e32 vcc, v2, v1
	s_or_b64 s[30:31], vcc, s[30:31]
	s_andn2_b64 exec, exec, s[30:31]
	s_cbranch_execz .LBB31_2
.LBB31_7:                               ;   Parent Loop BB31_3 Depth=1
                                        ; =>  This Loop Header: Depth=2
                                        ;       Child Loop BB31_10 Depth 3
	v_ashrrev_i32_e32 v3, 31, v2
	v_lshl_add_u64 v[4:5], v[2:3], 2, s[24:25]
	global_load_dword v4, v[4:5], off
	s_waitcnt vmcnt(0)
	v_subrev_u32_e32 v4, s38, v4
	v_ashrrev_i32_e32 v5, 31, v4
	v_lshlrev_b64 v[6:7], 2, v[4:5]
	v_lshl_add_u64 v[8:9], s[14:15], 0, v[6:7]
	global_load_dword v12, v[8:9], off
	v_lshl_add_u64 v[10:11], s[4:5], 0, v[6:7]
	v_lshl_add_u64 v[6:7], s[18:19], 0, v[6:7]
	global_load_dword v5, v[10:11], off
	v_lshl_add_u64 v[8:9], v[2:3], 3, s[26:27]
	global_load_dwordx2 v[8:9], v[8:9], off
	s_waitcnt vmcnt(2)
	v_subrev_u32_e32 v10, s38, v12
	global_load_dword v12, v[6:7], off
	v_ashrrev_i32_e32 v11, 31, v10
	v_lshl_add_u64 v[6:7], v[10:11], 3, s[10:11]
	global_load_dwordx2 v[6:7], v[6:7], off
	v_mov_b64_e32 v[10:11], 0
	s_waitcnt vmcnt(1)
	v_cmp_lt_i32_e32 vcc, v12, v5
	s_and_b64 s[2:3], s[0:1], vcc
	s_and_saveexec_b64 s[34:35], s[2:3]
	s_cbranch_execz .LBB31_13
; %bb.8:                                ;   in Loop: Header=BB31_7 Depth=2
	v_subrev_u32_e32 v5, s38, v5
	v_subrev_u32_e32 v12, s38, v12
	v_mov_b64_e32 v[10:11], 0
	s_mov_b64 s[36:37], 0
	v_mov_b32_e32 v14, v19
	s_branch .LBB31_10
.LBB31_9:                               ;   in Loop: Header=BB31_10 Depth=3
	s_or_b64 exec, exec, s[2:3]
	v_cmp_le_i32_e32 vcc, v20, v21
	s_nop 1
	v_addc_co_u32_e32 v14, vcc, 0, v14, vcc
	v_cmp_ge_i32_e32 vcc, v20, v21
	s_nop 1
	v_addc_co_u32_e32 v12, vcc, 0, v12, vcc
	v_cmp_ge_i32_e32 vcc, v14, v18
	v_cmp_ge_i32_e64 s[2:3], v12, v5
	s_or_b64 s[2:3], vcc, s[2:3]
	s_and_b64 s[2:3], exec, s[2:3]
	s_or_b64 s[36:37], s[2:3], s[36:37]
	s_andn2_b64 exec, exec, s[36:37]
	s_cbranch_execz .LBB31_12
.LBB31_10:                              ;   Parent Loop BB31_3 Depth=1
                                        ;     Parent Loop BB31_7 Depth=2
                                        ; =>    This Inner Loop Header: Depth=3
	v_ashrrev_i32_e32 v15, 31, v14
	v_ashrrev_i32_e32 v13, 31, v12
	v_lshl_add_u64 v[20:21], v[14:15], 2, s[16:17]
	v_lshl_add_u64 v[22:23], v[12:13], 2, s[6:7]
	global_load_dword v20, v[20:21], off
	s_nop 0
	global_load_dword v21, v[22:23], off
	s_waitcnt vmcnt(0)
	v_cmp_eq_u32_e32 vcc, v20, v21
	s_and_saveexec_b64 s[2:3], vcc
	s_cbranch_execz .LBB31_9
; %bb.11:                               ;   in Loop: Header=BB31_10 Depth=3
	v_lshl_add_u64 v[22:23], v[12:13], 2, s[8:9]
	global_load_dword v22, v[22:23], off
	v_lshl_add_u64 v[24:25], v[14:15], 3, s[10:11]
	global_load_dwordx2 v[24:25], v[24:25], off
	s_waitcnt vmcnt(1)
	v_ashrrev_i32_e32 v23, 31, v22
	v_lshl_add_u64 v[22:23], v[22:23], 3, s[10:11]
	global_load_dwordx2 v[22:23], v[22:23], off
	s_waitcnt vmcnt(0)
	v_fmac_f64_e32 v[10:11], v[24:25], v[22:23]
	s_branch .LBB31_9
.LBB31_12:                              ;   in Loop: Header=BB31_7 Depth=2
	s_or_b64 exec, exec, s[36:37]
.LBB31_13:                              ;   in Loop: Header=BB31_7 Depth=2
	s_or_b64 exec, exec, s[34:35]
	v_add_f64 v[8:9], v[8:9], -v[10:11]
	s_waitcnt vmcnt(0)
	v_div_scale_f64 v[10:11], s[2:3], v[6:7], v[6:7], v[8:9]
	v_rcp_f64_e32 v[12:13], v[10:11]
	v_div_scale_f64 v[14:15], vcc, v[8:9], v[6:7], v[8:9]
	v_fma_f64 v[20:21], -v[10:11], v[12:13], 1.0
	v_fmac_f64_e32 v[12:13], v[12:13], v[20:21]
	v_fma_f64 v[20:21], -v[10:11], v[12:13], 1.0
	v_fmac_f64_e32 v[12:13], v[12:13], v[20:21]
	v_mul_f64 v[20:21], v[14:15], v[12:13]
	v_fma_f64 v[10:11], -v[10:11], v[20:21], v[14:15]
	v_div_fmas_f64 v[10:11], v[10:11], v[12:13], v[20:21]
	v_div_fixup_f64 v[6:7], v[10:11], v[6:7], v[8:9]
	v_cmp_gt_i32_e32 vcc, v0, v4
	s_nop 1
	v_cndmask_b32_e32 v5, v9, v7, vcc
	v_cndmask_b32_e32 v4, v8, v6, vcc
	v_cmp_class_f64_e64 s[34:35], v[4:5], s40
	s_and_saveexec_b64 s[2:3], s[34:35]
	s_cbranch_execz .LBB31_6
; %bb.14:                               ;   in Loop: Header=BB31_7 Depth=2
	v_lshl_add_u64 v[6:7], v[2:3], 3, s[10:11]
	global_store_dwordx2 v[6:7], v[4:5], off
	s_branch .LBB31_6
.LBB31_15:
	s_endpgm
	.section	.rodata,"a",@progbits
	.p2align	6, 0x0
	.amdhsa_kernel _ZN9rocsparseL16kernel_calculateILi1024ELi16ELb0EdiiEEvT4_T3_PKS2_S4_PKS1_PKT2_21rocsparse_index_base_S4_S4_S6_S4_S4_S6_S4_PS7_PNS_15floating_traitsIS7_E6data_tEPKSE_
		.amdhsa_group_segment_fixed_size 0
		.amdhsa_private_segment_fixed_size 0
		.amdhsa_kernarg_size 128
		.amdhsa_user_sgpr_count 2
		.amdhsa_user_sgpr_dispatch_ptr 0
		.amdhsa_user_sgpr_queue_ptr 0
		.amdhsa_user_sgpr_kernarg_segment_ptr 1
		.amdhsa_user_sgpr_dispatch_id 0
		.amdhsa_user_sgpr_kernarg_preload_length 0
		.amdhsa_user_sgpr_kernarg_preload_offset 0
		.amdhsa_user_sgpr_private_segment_size 0
		.amdhsa_uses_dynamic_stack 0
		.amdhsa_enable_private_segment 0
		.amdhsa_system_sgpr_workgroup_id_x 1
		.amdhsa_system_sgpr_workgroup_id_y 0
		.amdhsa_system_sgpr_workgroup_id_z 0
		.amdhsa_system_sgpr_workgroup_info 0
		.amdhsa_system_vgpr_workitem_id 0
		.amdhsa_next_free_vgpr 26
		.amdhsa_next_free_sgpr 41
		.amdhsa_accum_offset 28
		.amdhsa_reserve_vcc 1
		.amdhsa_float_round_mode_32 0
		.amdhsa_float_round_mode_16_64 0
		.amdhsa_float_denorm_mode_32 3
		.amdhsa_float_denorm_mode_16_64 3
		.amdhsa_dx10_clamp 1
		.amdhsa_ieee_mode 1
		.amdhsa_fp16_overflow 0
		.amdhsa_tg_split 0
		.amdhsa_exception_fp_ieee_invalid_op 0
		.amdhsa_exception_fp_denorm_src 0
		.amdhsa_exception_fp_ieee_div_zero 0
		.amdhsa_exception_fp_ieee_overflow 0
		.amdhsa_exception_fp_ieee_underflow 0
		.amdhsa_exception_fp_ieee_inexact 0
		.amdhsa_exception_int_div_zero 0
	.end_amdhsa_kernel
	.section	.text._ZN9rocsparseL16kernel_calculateILi1024ELi16ELb0EdiiEEvT4_T3_PKS2_S4_PKS1_PKT2_21rocsparse_index_base_S4_S4_S6_S4_S4_S6_S4_PS7_PNS_15floating_traitsIS7_E6data_tEPKSE_,"axG",@progbits,_ZN9rocsparseL16kernel_calculateILi1024ELi16ELb0EdiiEEvT4_T3_PKS2_S4_PKS1_PKT2_21rocsparse_index_base_S4_S4_S6_S4_S4_S6_S4_PS7_PNS_15floating_traitsIS7_E6data_tEPKSE_,comdat
.Lfunc_end31:
	.size	_ZN9rocsparseL16kernel_calculateILi1024ELi16ELb0EdiiEEvT4_T3_PKS2_S4_PKS1_PKT2_21rocsparse_index_base_S4_S4_S6_S4_S4_S6_S4_PS7_PNS_15floating_traitsIS7_E6data_tEPKSE_, .Lfunc_end31-_ZN9rocsparseL16kernel_calculateILi1024ELi16ELb0EdiiEEvT4_T3_PKS2_S4_PKS1_PKT2_21rocsparse_index_base_S4_S4_S6_S4_S4_S6_S4_PS7_PNS_15floating_traitsIS7_E6data_tEPKSE_
                                        ; -- End function
	.set _ZN9rocsparseL16kernel_calculateILi1024ELi16ELb0EdiiEEvT4_T3_PKS2_S4_PKS1_PKT2_21rocsparse_index_base_S4_S4_S6_S4_S4_S6_S4_PS7_PNS_15floating_traitsIS7_E6data_tEPKSE_.num_vgpr, 26
	.set _ZN9rocsparseL16kernel_calculateILi1024ELi16ELb0EdiiEEvT4_T3_PKS2_S4_PKS1_PKT2_21rocsparse_index_base_S4_S4_S6_S4_S4_S6_S4_PS7_PNS_15floating_traitsIS7_E6data_tEPKSE_.num_agpr, 0
	.set _ZN9rocsparseL16kernel_calculateILi1024ELi16ELb0EdiiEEvT4_T3_PKS2_S4_PKS1_PKT2_21rocsparse_index_base_S4_S4_S6_S4_S4_S6_S4_PS7_PNS_15floating_traitsIS7_E6data_tEPKSE_.numbered_sgpr, 41
	.set _ZN9rocsparseL16kernel_calculateILi1024ELi16ELb0EdiiEEvT4_T3_PKS2_S4_PKS1_PKT2_21rocsparse_index_base_S4_S4_S6_S4_S4_S6_S4_PS7_PNS_15floating_traitsIS7_E6data_tEPKSE_.num_named_barrier, 0
	.set _ZN9rocsparseL16kernel_calculateILi1024ELi16ELb0EdiiEEvT4_T3_PKS2_S4_PKS1_PKT2_21rocsparse_index_base_S4_S4_S6_S4_S4_S6_S4_PS7_PNS_15floating_traitsIS7_E6data_tEPKSE_.private_seg_size, 0
	.set _ZN9rocsparseL16kernel_calculateILi1024ELi16ELb0EdiiEEvT4_T3_PKS2_S4_PKS1_PKT2_21rocsparse_index_base_S4_S4_S6_S4_S4_S6_S4_PS7_PNS_15floating_traitsIS7_E6data_tEPKSE_.uses_vcc, 1
	.set _ZN9rocsparseL16kernel_calculateILi1024ELi16ELb0EdiiEEvT4_T3_PKS2_S4_PKS1_PKT2_21rocsparse_index_base_S4_S4_S6_S4_S4_S6_S4_PS7_PNS_15floating_traitsIS7_E6data_tEPKSE_.uses_flat_scratch, 0
	.set _ZN9rocsparseL16kernel_calculateILi1024ELi16ELb0EdiiEEvT4_T3_PKS2_S4_PKS1_PKT2_21rocsparse_index_base_S4_S4_S6_S4_S4_S6_S4_PS7_PNS_15floating_traitsIS7_E6data_tEPKSE_.has_dyn_sized_stack, 0
	.set _ZN9rocsparseL16kernel_calculateILi1024ELi16ELb0EdiiEEvT4_T3_PKS2_S4_PKS1_PKT2_21rocsparse_index_base_S4_S4_S6_S4_S4_S6_S4_PS7_PNS_15floating_traitsIS7_E6data_tEPKSE_.has_recursion, 0
	.set _ZN9rocsparseL16kernel_calculateILi1024ELi16ELb0EdiiEEvT4_T3_PKS2_S4_PKS1_PKT2_21rocsparse_index_base_S4_S4_S6_S4_S4_S6_S4_PS7_PNS_15floating_traitsIS7_E6data_tEPKSE_.has_indirect_call, 0
	.section	.AMDGPU.csdata,"",@progbits
; Kernel info:
; codeLenInByte = 808
; TotalNumSgprs: 47
; NumVgprs: 26
; NumAgprs: 0
; TotalNumVgprs: 26
; ScratchSize: 0
; MemoryBound: 1
; FloatMode: 240
; IeeeMode: 1
; LDSByteSize: 0 bytes/workgroup (compile time only)
; SGPRBlocks: 5
; VGPRBlocks: 3
; NumSGPRsForWavesPerEU: 47
; NumVGPRsForWavesPerEU: 26
; AccumOffset: 28
; Occupancy: 8
; WaveLimiterHint : 1
; COMPUTE_PGM_RSRC2:SCRATCH_EN: 0
; COMPUTE_PGM_RSRC2:USER_SGPR: 2
; COMPUTE_PGM_RSRC2:TRAP_HANDLER: 0
; COMPUTE_PGM_RSRC2:TGID_X_EN: 1
; COMPUTE_PGM_RSRC2:TGID_Y_EN: 0
; COMPUTE_PGM_RSRC2:TGID_Z_EN: 0
; COMPUTE_PGM_RSRC2:TIDIG_COMP_CNT: 0
; COMPUTE_PGM_RSRC3_GFX90A:ACCUM_OFFSET: 6
; COMPUTE_PGM_RSRC3_GFX90A:TG_SPLIT: 0
	.section	.text._ZN9rocsparseL16kernel_calculateILi1024ELi32ELb0EdiiEEvT4_T3_PKS2_S4_PKS1_PKT2_21rocsparse_index_base_S4_S4_S6_S4_S4_S6_S4_PS7_PNS_15floating_traitsIS7_E6data_tEPKSE_,"axG",@progbits,_ZN9rocsparseL16kernel_calculateILi1024ELi32ELb0EdiiEEvT4_T3_PKS2_S4_PKS1_PKT2_21rocsparse_index_base_S4_S4_S6_S4_S4_S6_S4_PS7_PNS_15floating_traitsIS7_E6data_tEPKSE_,comdat
	.globl	_ZN9rocsparseL16kernel_calculateILi1024ELi32ELb0EdiiEEvT4_T3_PKS2_S4_PKS1_PKT2_21rocsparse_index_base_S4_S4_S6_S4_S4_S6_S4_PS7_PNS_15floating_traitsIS7_E6data_tEPKSE_ ; -- Begin function _ZN9rocsparseL16kernel_calculateILi1024ELi32ELb0EdiiEEvT4_T3_PKS2_S4_PKS1_PKT2_21rocsparse_index_base_S4_S4_S6_S4_S4_S6_S4_PS7_PNS_15floating_traitsIS7_E6data_tEPKSE_
	.p2align	8
	.type	_ZN9rocsparseL16kernel_calculateILi1024ELi32ELb0EdiiEEvT4_T3_PKS2_S4_PKS1_PKT2_21rocsparse_index_base_S4_S4_S6_S4_S4_S6_S4_PS7_PNS_15floating_traitsIS7_E6data_tEPKSE_,@function
_ZN9rocsparseL16kernel_calculateILi1024ELi32ELb0EdiiEEvT4_T3_PKS2_S4_PKS1_PKT2_21rocsparse_index_base_S4_S4_S6_S4_S4_S6_S4_PS7_PNS_15floating_traitsIS7_E6data_tEPKSE_: ; @_ZN9rocsparseL16kernel_calculateILi1024ELi32ELb0EdiiEEvT4_T3_PKS2_S4_PKS1_PKT2_21rocsparse_index_base_S4_S4_S6_S4_S4_S6_S4_PS7_PNS_15floating_traitsIS7_E6data_tEPKSE_
; %bb.0:
	s_load_dword s33, s[0:1], 0x0
	v_lshrrev_b32_e32 v1, 5, v0
	v_lshl_or_b32 v16, s2, 10, v1
	s_waitcnt lgkmcnt(0)
	v_cmp_gt_i32_e32 vcc, s33, v16
	s_and_saveexec_b64 s[2:3], vcc
	s_cbranch_execz .LBB32_15
; %bb.1:
	s_load_dword s38, s[0:1], 0x28
	s_load_dwordx8 s[4:11], s[0:1], 0x50
	s_load_dwordx8 s[12:19], s[0:1], 0x30
	;; [unrolled: 1-line block ×3, first 2 shown]
	v_and_b32_e32 v0, 31, v0
	s_waitcnt lgkmcnt(0)
	v_subrev_u32_e32 v17, s38, v0
	s_mov_b32 s39, 0
	s_movk_i32 s40, 0x1f8
	s_branch .LBB32_3
.LBB32_2:                               ;   in Loop: Header=BB32_3 Depth=1
	s_or_b64 exec, exec, s[28:29]
	s_add_i32 s39, s39, 1
	s_cmp_lg_u32 s39, 32
	s_cbranch_scc0 .LBB32_15
.LBB32_3:                               ; =>This Loop Header: Depth=1
                                        ;     Child Loop BB32_7 Depth 2
                                        ;       Child Loop BB32_10 Depth 3
	v_lshl_add_u32 v0, s39, 5, v16
	v_cmp_gt_i32_e32 vcc, s33, v0
	s_and_saveexec_b64 s[28:29], vcc
	s_cbranch_execz .LBB32_2
; %bb.4:                                ;   in Loop: Header=BB32_3 Depth=1
	v_ashrrev_i32_e32 v1, 31, v0
	v_lshlrev_b64 v[4:5], 2, v[0:1]
	v_lshl_add_u64 v[2:3], s[22:23], 0, v[4:5]
	global_load_dword v1, v[2:3], off
	v_lshl_add_u64 v[2:3], s[20:21], 0, v[4:5]
	global_load_dword v2, v[2:3], off
	s_waitcnt vmcnt(1)
	v_subrev_u32_e32 v1, s38, v1
	s_waitcnt vmcnt(0)
	v_add_u32_e32 v2, v17, v2
	v_cmp_lt_i32_e32 vcc, v2, v1
	s_and_b64 exec, exec, vcc
	s_cbranch_execz .LBB32_2
; %bb.5:                                ;   in Loop: Header=BB32_3 Depth=1
	v_lshl_add_u64 v[6:7], s[14:15], 0, v[4:5]
	v_lshl_add_u64 v[4:5], s[12:13], 0, v[4:5]
	global_load_dword v3, v[6:7], off
	s_mov_b64 s[30:31], 0
	global_load_dword v4, v[4:5], off
	s_waitcnt vmcnt(1)
	v_subrev_u32_e32 v18, s38, v3
	s_waitcnt vmcnt(0)
	v_cmp_lt_i32_e64 s[0:1], v4, v3
	v_subrev_u32_e32 v19, s38, v4
	s_branch .LBB32_7
.LBB32_6:                               ;   in Loop: Header=BB32_7 Depth=2
	s_or_b64 exec, exec, s[2:3]
	v_add_u32_e32 v2, 32, v2
	v_cmp_ge_i32_e32 vcc, v2, v1
	s_or_b64 s[30:31], vcc, s[30:31]
	s_andn2_b64 exec, exec, s[30:31]
	s_cbranch_execz .LBB32_2
.LBB32_7:                               ;   Parent Loop BB32_3 Depth=1
                                        ; =>  This Loop Header: Depth=2
                                        ;       Child Loop BB32_10 Depth 3
	v_ashrrev_i32_e32 v3, 31, v2
	v_lshl_add_u64 v[4:5], v[2:3], 2, s[24:25]
	global_load_dword v4, v[4:5], off
	s_waitcnt vmcnt(0)
	v_subrev_u32_e32 v4, s38, v4
	v_ashrrev_i32_e32 v5, 31, v4
	v_lshlrev_b64 v[6:7], 2, v[4:5]
	v_lshl_add_u64 v[8:9], s[14:15], 0, v[6:7]
	global_load_dword v12, v[8:9], off
	v_lshl_add_u64 v[10:11], s[4:5], 0, v[6:7]
	v_lshl_add_u64 v[6:7], s[18:19], 0, v[6:7]
	global_load_dword v5, v[10:11], off
	v_lshl_add_u64 v[8:9], v[2:3], 3, s[26:27]
	global_load_dwordx2 v[8:9], v[8:9], off
	s_waitcnt vmcnt(2)
	v_subrev_u32_e32 v10, s38, v12
	global_load_dword v12, v[6:7], off
	v_ashrrev_i32_e32 v11, 31, v10
	v_lshl_add_u64 v[6:7], v[10:11], 3, s[10:11]
	global_load_dwordx2 v[6:7], v[6:7], off
	v_mov_b64_e32 v[10:11], 0
	s_waitcnt vmcnt(1)
	v_cmp_lt_i32_e32 vcc, v12, v5
	s_and_b64 s[2:3], s[0:1], vcc
	s_and_saveexec_b64 s[34:35], s[2:3]
	s_cbranch_execz .LBB32_13
; %bb.8:                                ;   in Loop: Header=BB32_7 Depth=2
	v_subrev_u32_e32 v5, s38, v5
	v_subrev_u32_e32 v12, s38, v12
	v_mov_b64_e32 v[10:11], 0
	s_mov_b64 s[36:37], 0
	v_mov_b32_e32 v14, v19
	s_branch .LBB32_10
.LBB32_9:                               ;   in Loop: Header=BB32_10 Depth=3
	s_or_b64 exec, exec, s[2:3]
	v_cmp_le_i32_e32 vcc, v20, v21
	s_nop 1
	v_addc_co_u32_e32 v14, vcc, 0, v14, vcc
	v_cmp_ge_i32_e32 vcc, v20, v21
	s_nop 1
	v_addc_co_u32_e32 v12, vcc, 0, v12, vcc
	v_cmp_ge_i32_e32 vcc, v14, v18
	v_cmp_ge_i32_e64 s[2:3], v12, v5
	s_or_b64 s[2:3], vcc, s[2:3]
	s_and_b64 s[2:3], exec, s[2:3]
	s_or_b64 s[36:37], s[2:3], s[36:37]
	s_andn2_b64 exec, exec, s[36:37]
	s_cbranch_execz .LBB32_12
.LBB32_10:                              ;   Parent Loop BB32_3 Depth=1
                                        ;     Parent Loop BB32_7 Depth=2
                                        ; =>    This Inner Loop Header: Depth=3
	v_ashrrev_i32_e32 v15, 31, v14
	v_ashrrev_i32_e32 v13, 31, v12
	v_lshl_add_u64 v[20:21], v[14:15], 2, s[16:17]
	v_lshl_add_u64 v[22:23], v[12:13], 2, s[6:7]
	global_load_dword v20, v[20:21], off
	s_nop 0
	global_load_dword v21, v[22:23], off
	s_waitcnt vmcnt(0)
	v_cmp_eq_u32_e32 vcc, v20, v21
	s_and_saveexec_b64 s[2:3], vcc
	s_cbranch_execz .LBB32_9
; %bb.11:                               ;   in Loop: Header=BB32_10 Depth=3
	v_lshl_add_u64 v[22:23], v[12:13], 2, s[8:9]
	global_load_dword v22, v[22:23], off
	v_lshl_add_u64 v[24:25], v[14:15], 3, s[10:11]
	global_load_dwordx2 v[24:25], v[24:25], off
	s_waitcnt vmcnt(1)
	v_ashrrev_i32_e32 v23, 31, v22
	v_lshl_add_u64 v[22:23], v[22:23], 3, s[10:11]
	global_load_dwordx2 v[22:23], v[22:23], off
	s_waitcnt vmcnt(0)
	v_fmac_f64_e32 v[10:11], v[24:25], v[22:23]
	s_branch .LBB32_9
.LBB32_12:                              ;   in Loop: Header=BB32_7 Depth=2
	s_or_b64 exec, exec, s[36:37]
.LBB32_13:                              ;   in Loop: Header=BB32_7 Depth=2
	s_or_b64 exec, exec, s[34:35]
	v_add_f64 v[8:9], v[8:9], -v[10:11]
	s_waitcnt vmcnt(0)
	v_div_scale_f64 v[10:11], s[2:3], v[6:7], v[6:7], v[8:9]
	v_rcp_f64_e32 v[12:13], v[10:11]
	v_div_scale_f64 v[14:15], vcc, v[8:9], v[6:7], v[8:9]
	v_fma_f64 v[20:21], -v[10:11], v[12:13], 1.0
	v_fmac_f64_e32 v[12:13], v[12:13], v[20:21]
	v_fma_f64 v[20:21], -v[10:11], v[12:13], 1.0
	v_fmac_f64_e32 v[12:13], v[12:13], v[20:21]
	v_mul_f64 v[20:21], v[14:15], v[12:13]
	v_fma_f64 v[10:11], -v[10:11], v[20:21], v[14:15]
	v_div_fmas_f64 v[10:11], v[10:11], v[12:13], v[20:21]
	v_div_fixup_f64 v[6:7], v[10:11], v[6:7], v[8:9]
	v_cmp_gt_i32_e32 vcc, v0, v4
	s_nop 1
	v_cndmask_b32_e32 v5, v9, v7, vcc
	v_cndmask_b32_e32 v4, v8, v6, vcc
	v_cmp_class_f64_e64 s[34:35], v[4:5], s40
	s_and_saveexec_b64 s[2:3], s[34:35]
	s_cbranch_execz .LBB32_6
; %bb.14:                               ;   in Loop: Header=BB32_7 Depth=2
	v_lshl_add_u64 v[6:7], v[2:3], 3, s[10:11]
	global_store_dwordx2 v[6:7], v[4:5], off
	s_branch .LBB32_6
.LBB32_15:
	s_endpgm
	.section	.rodata,"a",@progbits
	.p2align	6, 0x0
	.amdhsa_kernel _ZN9rocsparseL16kernel_calculateILi1024ELi32ELb0EdiiEEvT4_T3_PKS2_S4_PKS1_PKT2_21rocsparse_index_base_S4_S4_S6_S4_S4_S6_S4_PS7_PNS_15floating_traitsIS7_E6data_tEPKSE_
		.amdhsa_group_segment_fixed_size 0
		.amdhsa_private_segment_fixed_size 0
		.amdhsa_kernarg_size 128
		.amdhsa_user_sgpr_count 2
		.amdhsa_user_sgpr_dispatch_ptr 0
		.amdhsa_user_sgpr_queue_ptr 0
		.amdhsa_user_sgpr_kernarg_segment_ptr 1
		.amdhsa_user_sgpr_dispatch_id 0
		.amdhsa_user_sgpr_kernarg_preload_length 0
		.amdhsa_user_sgpr_kernarg_preload_offset 0
		.amdhsa_user_sgpr_private_segment_size 0
		.amdhsa_uses_dynamic_stack 0
		.amdhsa_enable_private_segment 0
		.amdhsa_system_sgpr_workgroup_id_x 1
		.amdhsa_system_sgpr_workgroup_id_y 0
		.amdhsa_system_sgpr_workgroup_id_z 0
		.amdhsa_system_sgpr_workgroup_info 0
		.amdhsa_system_vgpr_workitem_id 0
		.amdhsa_next_free_vgpr 26
		.amdhsa_next_free_sgpr 41
		.amdhsa_accum_offset 28
		.amdhsa_reserve_vcc 1
		.amdhsa_float_round_mode_32 0
		.amdhsa_float_round_mode_16_64 0
		.amdhsa_float_denorm_mode_32 3
		.amdhsa_float_denorm_mode_16_64 3
		.amdhsa_dx10_clamp 1
		.amdhsa_ieee_mode 1
		.amdhsa_fp16_overflow 0
		.amdhsa_tg_split 0
		.amdhsa_exception_fp_ieee_invalid_op 0
		.amdhsa_exception_fp_denorm_src 0
		.amdhsa_exception_fp_ieee_div_zero 0
		.amdhsa_exception_fp_ieee_overflow 0
		.amdhsa_exception_fp_ieee_underflow 0
		.amdhsa_exception_fp_ieee_inexact 0
		.amdhsa_exception_int_div_zero 0
	.end_amdhsa_kernel
	.section	.text._ZN9rocsparseL16kernel_calculateILi1024ELi32ELb0EdiiEEvT4_T3_PKS2_S4_PKS1_PKT2_21rocsparse_index_base_S4_S4_S6_S4_S4_S6_S4_PS7_PNS_15floating_traitsIS7_E6data_tEPKSE_,"axG",@progbits,_ZN9rocsparseL16kernel_calculateILi1024ELi32ELb0EdiiEEvT4_T3_PKS2_S4_PKS1_PKT2_21rocsparse_index_base_S4_S4_S6_S4_S4_S6_S4_PS7_PNS_15floating_traitsIS7_E6data_tEPKSE_,comdat
.Lfunc_end32:
	.size	_ZN9rocsparseL16kernel_calculateILi1024ELi32ELb0EdiiEEvT4_T3_PKS2_S4_PKS1_PKT2_21rocsparse_index_base_S4_S4_S6_S4_S4_S6_S4_PS7_PNS_15floating_traitsIS7_E6data_tEPKSE_, .Lfunc_end32-_ZN9rocsparseL16kernel_calculateILi1024ELi32ELb0EdiiEEvT4_T3_PKS2_S4_PKS1_PKT2_21rocsparse_index_base_S4_S4_S6_S4_S4_S6_S4_PS7_PNS_15floating_traitsIS7_E6data_tEPKSE_
                                        ; -- End function
	.set _ZN9rocsparseL16kernel_calculateILi1024ELi32ELb0EdiiEEvT4_T3_PKS2_S4_PKS1_PKT2_21rocsparse_index_base_S4_S4_S6_S4_S4_S6_S4_PS7_PNS_15floating_traitsIS7_E6data_tEPKSE_.num_vgpr, 26
	.set _ZN9rocsparseL16kernel_calculateILi1024ELi32ELb0EdiiEEvT4_T3_PKS2_S4_PKS1_PKT2_21rocsparse_index_base_S4_S4_S6_S4_S4_S6_S4_PS7_PNS_15floating_traitsIS7_E6data_tEPKSE_.num_agpr, 0
	.set _ZN9rocsparseL16kernel_calculateILi1024ELi32ELb0EdiiEEvT4_T3_PKS2_S4_PKS1_PKT2_21rocsparse_index_base_S4_S4_S6_S4_S4_S6_S4_PS7_PNS_15floating_traitsIS7_E6data_tEPKSE_.numbered_sgpr, 41
	.set _ZN9rocsparseL16kernel_calculateILi1024ELi32ELb0EdiiEEvT4_T3_PKS2_S4_PKS1_PKT2_21rocsparse_index_base_S4_S4_S6_S4_S4_S6_S4_PS7_PNS_15floating_traitsIS7_E6data_tEPKSE_.num_named_barrier, 0
	.set _ZN9rocsparseL16kernel_calculateILi1024ELi32ELb0EdiiEEvT4_T3_PKS2_S4_PKS1_PKT2_21rocsparse_index_base_S4_S4_S6_S4_S4_S6_S4_PS7_PNS_15floating_traitsIS7_E6data_tEPKSE_.private_seg_size, 0
	.set _ZN9rocsparseL16kernel_calculateILi1024ELi32ELb0EdiiEEvT4_T3_PKS2_S4_PKS1_PKT2_21rocsparse_index_base_S4_S4_S6_S4_S4_S6_S4_PS7_PNS_15floating_traitsIS7_E6data_tEPKSE_.uses_vcc, 1
	.set _ZN9rocsparseL16kernel_calculateILi1024ELi32ELb0EdiiEEvT4_T3_PKS2_S4_PKS1_PKT2_21rocsparse_index_base_S4_S4_S6_S4_S4_S6_S4_PS7_PNS_15floating_traitsIS7_E6data_tEPKSE_.uses_flat_scratch, 0
	.set _ZN9rocsparseL16kernel_calculateILi1024ELi32ELb0EdiiEEvT4_T3_PKS2_S4_PKS1_PKT2_21rocsparse_index_base_S4_S4_S6_S4_S4_S6_S4_PS7_PNS_15floating_traitsIS7_E6data_tEPKSE_.has_dyn_sized_stack, 0
	.set _ZN9rocsparseL16kernel_calculateILi1024ELi32ELb0EdiiEEvT4_T3_PKS2_S4_PKS1_PKT2_21rocsparse_index_base_S4_S4_S6_S4_S4_S6_S4_PS7_PNS_15floating_traitsIS7_E6data_tEPKSE_.has_recursion, 0
	.set _ZN9rocsparseL16kernel_calculateILi1024ELi32ELb0EdiiEEvT4_T3_PKS2_S4_PKS1_PKT2_21rocsparse_index_base_S4_S4_S6_S4_S4_S6_S4_PS7_PNS_15floating_traitsIS7_E6data_tEPKSE_.has_indirect_call, 0
	.section	.AMDGPU.csdata,"",@progbits
; Kernel info:
; codeLenInByte = 808
; TotalNumSgprs: 47
; NumVgprs: 26
; NumAgprs: 0
; TotalNumVgprs: 26
; ScratchSize: 0
; MemoryBound: 1
; FloatMode: 240
; IeeeMode: 1
; LDSByteSize: 0 bytes/workgroup (compile time only)
; SGPRBlocks: 5
; VGPRBlocks: 3
; NumSGPRsForWavesPerEU: 47
; NumVGPRsForWavesPerEU: 26
; AccumOffset: 28
; Occupancy: 8
; WaveLimiterHint : 1
; COMPUTE_PGM_RSRC2:SCRATCH_EN: 0
; COMPUTE_PGM_RSRC2:USER_SGPR: 2
; COMPUTE_PGM_RSRC2:TRAP_HANDLER: 0
; COMPUTE_PGM_RSRC2:TGID_X_EN: 1
; COMPUTE_PGM_RSRC2:TGID_Y_EN: 0
; COMPUTE_PGM_RSRC2:TGID_Z_EN: 0
; COMPUTE_PGM_RSRC2:TIDIG_COMP_CNT: 0
; COMPUTE_PGM_RSRC3_GFX90A:ACCUM_OFFSET: 6
; COMPUTE_PGM_RSRC3_GFX90A:TG_SPLIT: 0
	.section	.text._ZN9rocsparseL16kernel_calculateILi1024ELi64ELb0EdiiEEvT4_T3_PKS2_S4_PKS1_PKT2_21rocsparse_index_base_S4_S4_S6_S4_S4_S6_S4_PS7_PNS_15floating_traitsIS7_E6data_tEPKSE_,"axG",@progbits,_ZN9rocsparseL16kernel_calculateILi1024ELi64ELb0EdiiEEvT4_T3_PKS2_S4_PKS1_PKT2_21rocsparse_index_base_S4_S4_S6_S4_S4_S6_S4_PS7_PNS_15floating_traitsIS7_E6data_tEPKSE_,comdat
	.globl	_ZN9rocsparseL16kernel_calculateILi1024ELi64ELb0EdiiEEvT4_T3_PKS2_S4_PKS1_PKT2_21rocsparse_index_base_S4_S4_S6_S4_S4_S6_S4_PS7_PNS_15floating_traitsIS7_E6data_tEPKSE_ ; -- Begin function _ZN9rocsparseL16kernel_calculateILi1024ELi64ELb0EdiiEEvT4_T3_PKS2_S4_PKS1_PKT2_21rocsparse_index_base_S4_S4_S6_S4_S4_S6_S4_PS7_PNS_15floating_traitsIS7_E6data_tEPKSE_
	.p2align	8
	.type	_ZN9rocsparseL16kernel_calculateILi1024ELi64ELb0EdiiEEvT4_T3_PKS2_S4_PKS1_PKT2_21rocsparse_index_base_S4_S4_S6_S4_S4_S6_S4_PS7_PNS_15floating_traitsIS7_E6data_tEPKSE_,@function
_ZN9rocsparseL16kernel_calculateILi1024ELi64ELb0EdiiEEvT4_T3_PKS2_S4_PKS1_PKT2_21rocsparse_index_base_S4_S4_S6_S4_S4_S6_S4_PS7_PNS_15floating_traitsIS7_E6data_tEPKSE_: ; @_ZN9rocsparseL16kernel_calculateILi1024ELi64ELb0EdiiEEvT4_T3_PKS2_S4_PKS1_PKT2_21rocsparse_index_base_S4_S4_S6_S4_S4_S6_S4_PS7_PNS_15floating_traitsIS7_E6data_tEPKSE_
; %bb.0:
	s_load_dword s33, s[0:1], 0x0
	v_lshrrev_b32_e32 v1, 6, v0
	v_lshl_or_b32 v16, s2, 10, v1
	s_waitcnt lgkmcnt(0)
	v_cmp_gt_i32_e32 vcc, s33, v16
	s_and_saveexec_b64 s[2:3], vcc
	s_cbranch_execz .LBB33_15
; %bb.1:
	s_load_dword s38, s[0:1], 0x28
	s_load_dwordx8 s[4:11], s[0:1], 0x50
	s_load_dwordx8 s[12:19], s[0:1], 0x30
	;; [unrolled: 1-line block ×3, first 2 shown]
	v_and_b32_e32 v0, 63, v0
	s_waitcnt lgkmcnt(0)
	v_subrev_u32_e32 v17, s38, v0
	s_mov_b32 s39, 0
	s_movk_i32 s40, 0x1f8
	s_branch .LBB33_3
.LBB33_2:                               ;   in Loop: Header=BB33_3 Depth=1
	s_or_b64 exec, exec, s[28:29]
	s_add_i32 s39, s39, 1
	s_cmp_lg_u32 s39, 64
	s_cbranch_scc0 .LBB33_15
.LBB33_3:                               ; =>This Loop Header: Depth=1
                                        ;     Child Loop BB33_7 Depth 2
                                        ;       Child Loop BB33_10 Depth 3
	v_lshl_add_u32 v0, s39, 4, v16
	v_cmp_gt_i32_e32 vcc, s33, v0
	s_and_saveexec_b64 s[28:29], vcc
	s_cbranch_execz .LBB33_2
; %bb.4:                                ;   in Loop: Header=BB33_3 Depth=1
	v_ashrrev_i32_e32 v1, 31, v0
	v_lshlrev_b64 v[4:5], 2, v[0:1]
	v_lshl_add_u64 v[2:3], s[22:23], 0, v[4:5]
	global_load_dword v1, v[2:3], off
	v_lshl_add_u64 v[2:3], s[20:21], 0, v[4:5]
	global_load_dword v2, v[2:3], off
	s_waitcnt vmcnt(1)
	v_subrev_u32_e32 v1, s38, v1
	s_waitcnt vmcnt(0)
	v_add_u32_e32 v2, v17, v2
	v_cmp_lt_i32_e32 vcc, v2, v1
	s_and_b64 exec, exec, vcc
	s_cbranch_execz .LBB33_2
; %bb.5:                                ;   in Loop: Header=BB33_3 Depth=1
	v_lshl_add_u64 v[6:7], s[14:15], 0, v[4:5]
	v_lshl_add_u64 v[4:5], s[12:13], 0, v[4:5]
	global_load_dword v3, v[6:7], off
	s_mov_b64 s[30:31], 0
	global_load_dword v4, v[4:5], off
	s_waitcnt vmcnt(1)
	v_subrev_u32_e32 v18, s38, v3
	s_waitcnt vmcnt(0)
	v_cmp_lt_i32_e64 s[0:1], v4, v3
	v_subrev_u32_e32 v19, s38, v4
	s_branch .LBB33_7
.LBB33_6:                               ;   in Loop: Header=BB33_7 Depth=2
	s_or_b64 exec, exec, s[2:3]
	v_add_u32_e32 v2, 64, v2
	v_cmp_ge_i32_e32 vcc, v2, v1
	s_or_b64 s[30:31], vcc, s[30:31]
	s_andn2_b64 exec, exec, s[30:31]
	s_cbranch_execz .LBB33_2
.LBB33_7:                               ;   Parent Loop BB33_3 Depth=1
                                        ; =>  This Loop Header: Depth=2
                                        ;       Child Loop BB33_10 Depth 3
	v_ashrrev_i32_e32 v3, 31, v2
	v_lshl_add_u64 v[4:5], v[2:3], 2, s[24:25]
	global_load_dword v4, v[4:5], off
	s_waitcnt vmcnt(0)
	v_subrev_u32_e32 v4, s38, v4
	v_ashrrev_i32_e32 v5, 31, v4
	v_lshlrev_b64 v[6:7], 2, v[4:5]
	v_lshl_add_u64 v[8:9], s[14:15], 0, v[6:7]
	global_load_dword v12, v[8:9], off
	v_lshl_add_u64 v[10:11], s[4:5], 0, v[6:7]
	v_lshl_add_u64 v[6:7], s[18:19], 0, v[6:7]
	global_load_dword v5, v[10:11], off
	v_lshl_add_u64 v[8:9], v[2:3], 3, s[26:27]
	global_load_dwordx2 v[8:9], v[8:9], off
	s_waitcnt vmcnt(2)
	v_subrev_u32_e32 v10, s38, v12
	global_load_dword v12, v[6:7], off
	v_ashrrev_i32_e32 v11, 31, v10
	v_lshl_add_u64 v[6:7], v[10:11], 3, s[10:11]
	global_load_dwordx2 v[6:7], v[6:7], off
	v_mov_b64_e32 v[10:11], 0
	s_waitcnt vmcnt(1)
	v_cmp_lt_i32_e32 vcc, v12, v5
	s_and_b64 s[2:3], s[0:1], vcc
	s_and_saveexec_b64 s[34:35], s[2:3]
	s_cbranch_execz .LBB33_13
; %bb.8:                                ;   in Loop: Header=BB33_7 Depth=2
	v_subrev_u32_e32 v5, s38, v5
	v_subrev_u32_e32 v12, s38, v12
	v_mov_b64_e32 v[10:11], 0
	s_mov_b64 s[36:37], 0
	v_mov_b32_e32 v14, v19
	s_branch .LBB33_10
.LBB33_9:                               ;   in Loop: Header=BB33_10 Depth=3
	s_or_b64 exec, exec, s[2:3]
	v_cmp_le_i32_e32 vcc, v20, v21
	s_nop 1
	v_addc_co_u32_e32 v14, vcc, 0, v14, vcc
	v_cmp_ge_i32_e32 vcc, v20, v21
	s_nop 1
	v_addc_co_u32_e32 v12, vcc, 0, v12, vcc
	v_cmp_ge_i32_e32 vcc, v14, v18
	v_cmp_ge_i32_e64 s[2:3], v12, v5
	s_or_b64 s[2:3], vcc, s[2:3]
	s_and_b64 s[2:3], exec, s[2:3]
	s_or_b64 s[36:37], s[2:3], s[36:37]
	s_andn2_b64 exec, exec, s[36:37]
	s_cbranch_execz .LBB33_12
.LBB33_10:                              ;   Parent Loop BB33_3 Depth=1
                                        ;     Parent Loop BB33_7 Depth=2
                                        ; =>    This Inner Loop Header: Depth=3
	v_ashrrev_i32_e32 v15, 31, v14
	v_ashrrev_i32_e32 v13, 31, v12
	v_lshl_add_u64 v[20:21], v[14:15], 2, s[16:17]
	v_lshl_add_u64 v[22:23], v[12:13], 2, s[6:7]
	global_load_dword v20, v[20:21], off
	s_nop 0
	global_load_dword v21, v[22:23], off
	s_waitcnt vmcnt(0)
	v_cmp_eq_u32_e32 vcc, v20, v21
	s_and_saveexec_b64 s[2:3], vcc
	s_cbranch_execz .LBB33_9
; %bb.11:                               ;   in Loop: Header=BB33_10 Depth=3
	v_lshl_add_u64 v[22:23], v[12:13], 2, s[8:9]
	global_load_dword v22, v[22:23], off
	v_lshl_add_u64 v[24:25], v[14:15], 3, s[10:11]
	global_load_dwordx2 v[24:25], v[24:25], off
	s_waitcnt vmcnt(1)
	v_ashrrev_i32_e32 v23, 31, v22
	v_lshl_add_u64 v[22:23], v[22:23], 3, s[10:11]
	global_load_dwordx2 v[22:23], v[22:23], off
	s_waitcnt vmcnt(0)
	v_fmac_f64_e32 v[10:11], v[24:25], v[22:23]
	s_branch .LBB33_9
.LBB33_12:                              ;   in Loop: Header=BB33_7 Depth=2
	s_or_b64 exec, exec, s[36:37]
.LBB33_13:                              ;   in Loop: Header=BB33_7 Depth=2
	s_or_b64 exec, exec, s[34:35]
	v_add_f64 v[8:9], v[8:9], -v[10:11]
	s_waitcnt vmcnt(0)
	v_div_scale_f64 v[10:11], s[2:3], v[6:7], v[6:7], v[8:9]
	v_rcp_f64_e32 v[12:13], v[10:11]
	v_div_scale_f64 v[14:15], vcc, v[8:9], v[6:7], v[8:9]
	v_fma_f64 v[20:21], -v[10:11], v[12:13], 1.0
	v_fmac_f64_e32 v[12:13], v[12:13], v[20:21]
	v_fma_f64 v[20:21], -v[10:11], v[12:13], 1.0
	v_fmac_f64_e32 v[12:13], v[12:13], v[20:21]
	v_mul_f64 v[20:21], v[14:15], v[12:13]
	v_fma_f64 v[10:11], -v[10:11], v[20:21], v[14:15]
	v_div_fmas_f64 v[10:11], v[10:11], v[12:13], v[20:21]
	v_div_fixup_f64 v[6:7], v[10:11], v[6:7], v[8:9]
	v_cmp_gt_i32_e32 vcc, v0, v4
	s_nop 1
	v_cndmask_b32_e32 v5, v9, v7, vcc
	v_cndmask_b32_e32 v4, v8, v6, vcc
	v_cmp_class_f64_e64 s[34:35], v[4:5], s40
	s_and_saveexec_b64 s[2:3], s[34:35]
	s_cbranch_execz .LBB33_6
; %bb.14:                               ;   in Loop: Header=BB33_7 Depth=2
	v_lshl_add_u64 v[6:7], v[2:3], 3, s[10:11]
	global_store_dwordx2 v[6:7], v[4:5], off
	s_branch .LBB33_6
.LBB33_15:
	s_endpgm
	.section	.rodata,"a",@progbits
	.p2align	6, 0x0
	.amdhsa_kernel _ZN9rocsparseL16kernel_calculateILi1024ELi64ELb0EdiiEEvT4_T3_PKS2_S4_PKS1_PKT2_21rocsparse_index_base_S4_S4_S6_S4_S4_S6_S4_PS7_PNS_15floating_traitsIS7_E6data_tEPKSE_
		.amdhsa_group_segment_fixed_size 0
		.amdhsa_private_segment_fixed_size 0
		.amdhsa_kernarg_size 128
		.amdhsa_user_sgpr_count 2
		.amdhsa_user_sgpr_dispatch_ptr 0
		.amdhsa_user_sgpr_queue_ptr 0
		.amdhsa_user_sgpr_kernarg_segment_ptr 1
		.amdhsa_user_sgpr_dispatch_id 0
		.amdhsa_user_sgpr_kernarg_preload_length 0
		.amdhsa_user_sgpr_kernarg_preload_offset 0
		.amdhsa_user_sgpr_private_segment_size 0
		.amdhsa_uses_dynamic_stack 0
		.amdhsa_enable_private_segment 0
		.amdhsa_system_sgpr_workgroup_id_x 1
		.amdhsa_system_sgpr_workgroup_id_y 0
		.amdhsa_system_sgpr_workgroup_id_z 0
		.amdhsa_system_sgpr_workgroup_info 0
		.amdhsa_system_vgpr_workitem_id 0
		.amdhsa_next_free_vgpr 26
		.amdhsa_next_free_sgpr 41
		.amdhsa_accum_offset 28
		.amdhsa_reserve_vcc 1
		.amdhsa_float_round_mode_32 0
		.amdhsa_float_round_mode_16_64 0
		.amdhsa_float_denorm_mode_32 3
		.amdhsa_float_denorm_mode_16_64 3
		.amdhsa_dx10_clamp 1
		.amdhsa_ieee_mode 1
		.amdhsa_fp16_overflow 0
		.amdhsa_tg_split 0
		.amdhsa_exception_fp_ieee_invalid_op 0
		.amdhsa_exception_fp_denorm_src 0
		.amdhsa_exception_fp_ieee_div_zero 0
		.amdhsa_exception_fp_ieee_overflow 0
		.amdhsa_exception_fp_ieee_underflow 0
		.amdhsa_exception_fp_ieee_inexact 0
		.amdhsa_exception_int_div_zero 0
	.end_amdhsa_kernel
	.section	.text._ZN9rocsparseL16kernel_calculateILi1024ELi64ELb0EdiiEEvT4_T3_PKS2_S4_PKS1_PKT2_21rocsparse_index_base_S4_S4_S6_S4_S4_S6_S4_PS7_PNS_15floating_traitsIS7_E6data_tEPKSE_,"axG",@progbits,_ZN9rocsparseL16kernel_calculateILi1024ELi64ELb0EdiiEEvT4_T3_PKS2_S4_PKS1_PKT2_21rocsparse_index_base_S4_S4_S6_S4_S4_S6_S4_PS7_PNS_15floating_traitsIS7_E6data_tEPKSE_,comdat
.Lfunc_end33:
	.size	_ZN9rocsparseL16kernel_calculateILi1024ELi64ELb0EdiiEEvT4_T3_PKS2_S4_PKS1_PKT2_21rocsparse_index_base_S4_S4_S6_S4_S4_S6_S4_PS7_PNS_15floating_traitsIS7_E6data_tEPKSE_, .Lfunc_end33-_ZN9rocsparseL16kernel_calculateILi1024ELi64ELb0EdiiEEvT4_T3_PKS2_S4_PKS1_PKT2_21rocsparse_index_base_S4_S4_S6_S4_S4_S6_S4_PS7_PNS_15floating_traitsIS7_E6data_tEPKSE_
                                        ; -- End function
	.set _ZN9rocsparseL16kernel_calculateILi1024ELi64ELb0EdiiEEvT4_T3_PKS2_S4_PKS1_PKT2_21rocsparse_index_base_S4_S4_S6_S4_S4_S6_S4_PS7_PNS_15floating_traitsIS7_E6data_tEPKSE_.num_vgpr, 26
	.set _ZN9rocsparseL16kernel_calculateILi1024ELi64ELb0EdiiEEvT4_T3_PKS2_S4_PKS1_PKT2_21rocsparse_index_base_S4_S4_S6_S4_S4_S6_S4_PS7_PNS_15floating_traitsIS7_E6data_tEPKSE_.num_agpr, 0
	.set _ZN9rocsparseL16kernel_calculateILi1024ELi64ELb0EdiiEEvT4_T3_PKS2_S4_PKS1_PKT2_21rocsparse_index_base_S4_S4_S6_S4_S4_S6_S4_PS7_PNS_15floating_traitsIS7_E6data_tEPKSE_.numbered_sgpr, 41
	.set _ZN9rocsparseL16kernel_calculateILi1024ELi64ELb0EdiiEEvT4_T3_PKS2_S4_PKS1_PKT2_21rocsparse_index_base_S4_S4_S6_S4_S4_S6_S4_PS7_PNS_15floating_traitsIS7_E6data_tEPKSE_.num_named_barrier, 0
	.set _ZN9rocsparseL16kernel_calculateILi1024ELi64ELb0EdiiEEvT4_T3_PKS2_S4_PKS1_PKT2_21rocsparse_index_base_S4_S4_S6_S4_S4_S6_S4_PS7_PNS_15floating_traitsIS7_E6data_tEPKSE_.private_seg_size, 0
	.set _ZN9rocsparseL16kernel_calculateILi1024ELi64ELb0EdiiEEvT4_T3_PKS2_S4_PKS1_PKT2_21rocsparse_index_base_S4_S4_S6_S4_S4_S6_S4_PS7_PNS_15floating_traitsIS7_E6data_tEPKSE_.uses_vcc, 1
	.set _ZN9rocsparseL16kernel_calculateILi1024ELi64ELb0EdiiEEvT4_T3_PKS2_S4_PKS1_PKT2_21rocsparse_index_base_S4_S4_S6_S4_S4_S6_S4_PS7_PNS_15floating_traitsIS7_E6data_tEPKSE_.uses_flat_scratch, 0
	.set _ZN9rocsparseL16kernel_calculateILi1024ELi64ELb0EdiiEEvT4_T3_PKS2_S4_PKS1_PKT2_21rocsparse_index_base_S4_S4_S6_S4_S4_S6_S4_PS7_PNS_15floating_traitsIS7_E6data_tEPKSE_.has_dyn_sized_stack, 0
	.set _ZN9rocsparseL16kernel_calculateILi1024ELi64ELb0EdiiEEvT4_T3_PKS2_S4_PKS1_PKT2_21rocsparse_index_base_S4_S4_S6_S4_S4_S6_S4_PS7_PNS_15floating_traitsIS7_E6data_tEPKSE_.has_recursion, 0
	.set _ZN9rocsparseL16kernel_calculateILi1024ELi64ELb0EdiiEEvT4_T3_PKS2_S4_PKS1_PKT2_21rocsparse_index_base_S4_S4_S6_S4_S4_S6_S4_PS7_PNS_15floating_traitsIS7_E6data_tEPKSE_.has_indirect_call, 0
	.section	.AMDGPU.csdata,"",@progbits
; Kernel info:
; codeLenInByte = 808
; TotalNumSgprs: 47
; NumVgprs: 26
; NumAgprs: 0
; TotalNumVgprs: 26
; ScratchSize: 0
; MemoryBound: 1
; FloatMode: 240
; IeeeMode: 1
; LDSByteSize: 0 bytes/workgroup (compile time only)
; SGPRBlocks: 5
; VGPRBlocks: 3
; NumSGPRsForWavesPerEU: 47
; NumVGPRsForWavesPerEU: 26
; AccumOffset: 28
; Occupancy: 8
; WaveLimiterHint : 1
; COMPUTE_PGM_RSRC2:SCRATCH_EN: 0
; COMPUTE_PGM_RSRC2:USER_SGPR: 2
; COMPUTE_PGM_RSRC2:TRAP_HANDLER: 0
; COMPUTE_PGM_RSRC2:TGID_X_EN: 1
; COMPUTE_PGM_RSRC2:TGID_Y_EN: 0
; COMPUTE_PGM_RSRC2:TGID_Z_EN: 0
; COMPUTE_PGM_RSRC2:TIDIG_COMP_CNT: 0
; COMPUTE_PGM_RSRC3_GFX90A:ACCUM_OFFSET: 6
; COMPUTE_PGM_RSRC3_GFX90A:TG_SPLIT: 0
	.section	.text._ZN9rocsparseL20kernel_calculate_cooILi1024ELi32ELb0EdiiEEvT4_T3_PKS1_S4_PKT2_21rocsparse_index_base_PKS2_SA_S4_SA_SA_S4_SA_PS5_PNS_15floating_traitsIS5_E6data_tEPKSE_,"axG",@progbits,_ZN9rocsparseL20kernel_calculate_cooILi1024ELi32ELb0EdiiEEvT4_T3_PKS1_S4_PKT2_21rocsparse_index_base_PKS2_SA_S4_SA_SA_S4_SA_PS5_PNS_15floating_traitsIS5_E6data_tEPKSE_,comdat
	.globl	_ZN9rocsparseL20kernel_calculate_cooILi1024ELi32ELb0EdiiEEvT4_T3_PKS1_S4_PKT2_21rocsparse_index_base_PKS2_SA_S4_SA_SA_S4_SA_PS5_PNS_15floating_traitsIS5_E6data_tEPKSE_ ; -- Begin function _ZN9rocsparseL20kernel_calculate_cooILi1024ELi32ELb0EdiiEEvT4_T3_PKS1_S4_PKT2_21rocsparse_index_base_PKS2_SA_S4_SA_SA_S4_SA_PS5_PNS_15floating_traitsIS5_E6data_tEPKSE_
	.p2align	8
	.type	_ZN9rocsparseL20kernel_calculate_cooILi1024ELi32ELb0EdiiEEvT4_T3_PKS1_S4_PKT2_21rocsparse_index_base_PKS2_SA_S4_SA_SA_S4_SA_PS5_PNS_15floating_traitsIS5_E6data_tEPKSE_,@function
_ZN9rocsparseL20kernel_calculate_cooILi1024ELi32ELb0EdiiEEvT4_T3_PKS1_S4_PKT2_21rocsparse_index_base_PKS2_SA_S4_SA_SA_S4_SA_PS5_PNS_15floating_traitsIS5_E6data_tEPKSE_: ; @_ZN9rocsparseL20kernel_calculate_cooILi1024ELi32ELb0EdiiEEvT4_T3_PKS1_S4_PKT2_21rocsparse_index_base_PKS2_SA_S4_SA_SA_S4_SA_PS5_PNS_15floating_traitsIS5_E6data_tEPKSE_
; %bb.0:
	s_load_dword s30, s[0:1], 0x4
	v_lshl_or_b32 v0, s2, 16, v0
	s_waitcnt lgkmcnt(0)
	v_cmp_gt_i32_e32 vcc, s30, v0
	s_and_saveexec_b64 s[2:3], vcc
	s_cbranch_execz .LBB34_12
; %bb.1:
	s_load_dwordx8 s[4:11], s[0:1], 0x48
	s_load_dwordx4 s[20:23], s[0:1], 0x8
	s_load_dwordx2 s[2:3], s[0:1], 0x18
	s_load_dwordx8 s[12:19], s[0:1], 0x28
	s_load_dword s31, s[0:1], 0x20
	s_mov_b32 s33, 0
	s_movk_i32 s34, 0x1f8
	s_branch .LBB34_3
.LBB34_2:                               ;   in Loop: Header=BB34_3 Depth=1
	s_or_b64 exec, exec, s[24:25]
	s_add_i32 s33, s33, 1
	s_cmp_lg_u32 s33, 64
	v_add_u32_e32 v0, 0x400, v0
	s_cbranch_scc0 .LBB34_12
.LBB34_3:                               ; =>This Loop Header: Depth=1
                                        ;     Child Loop BB34_7 Depth 2
	v_cmp_gt_i32_e32 vcc, s30, v0
	s_and_saveexec_b64 s[24:25], vcc
	s_cbranch_execz .LBB34_2
; %bb.4:                                ;   in Loop: Header=BB34_3 Depth=1
	v_ashrrev_i32_e32 v1, 31, v0
	v_lshlrev_b64 v[2:3], 2, v[0:1]
	s_waitcnt lgkmcnt(0)
	v_lshl_add_u64 v[4:5], s[22:23], 0, v[2:3]
	global_load_dword v12, v[4:5], off
	v_lshl_add_u64 v[2:3], s[20:21], 0, v[2:3]
	global_load_dword v13, v[2:3], off
	s_waitcnt vmcnt(1)
	v_subrev_u32_e32 v2, s31, v12
	v_ashrrev_i32_e32 v3, 31, v2
	v_lshlrev_b64 v[4:5], 2, v[2:3]
	v_lshl_add_u64 v[2:3], s[14:15], 0, v[4:5]
	global_load_dword v11, v[2:3], off
	s_waitcnt vmcnt(1)
	v_subrev_u32_e32 v2, s31, v13
	v_ashrrev_i32_e32 v3, 31, v2
	v_lshlrev_b64 v[6:7], 2, v[2:3]
	v_lshl_add_u64 v[2:3], s[14:15], 0, v[6:7]
	global_load_dword v8, v[2:3], off
	v_lshl_add_u64 v[2:3], v[0:1], 3, s[2:3]
	v_lshl_add_u64 v[14:15], s[4:5], 0, v[4:5]
	;; [unrolled: 1-line block ×3, first 2 shown]
	global_load_dwordx2 v[2:3], v[2:3], off
	v_lshl_add_u64 v[4:5], s[18:19], 0, v[4:5]
	global_load_dword v10, v[14:15], off
	global_load_dword v9, v[6:7], off
	s_waitcnt vmcnt(4)
	v_subrev_u32_e32 v6, s31, v11
	global_load_dword v11, v[4:5], off
	v_ashrrev_i32_e32 v7, 31, v6
	v_lshl_add_u64 v[4:5], v[6:7], 3, s[10:11]
	global_load_dwordx2 v[4:5], v[4:5], off
	v_mov_b64_e32 v[6:7], 0
	s_waitcnt vmcnt(2)
	v_cmp_lt_i32_e32 vcc, v9, v8
	s_waitcnt vmcnt(1)
	v_cmp_lt_i32_e64 s[0:1], v11, v10
	s_and_b64 s[0:1], vcc, s[0:1]
	s_and_saveexec_b64 s[26:27], s[0:1]
	s_cbranch_execz .LBB34_10
; %bb.5:                                ;   in Loop: Header=BB34_3 Depth=1
	v_subrev_u32_e32 v14, s31, v10
	v_subrev_u32_e32 v15, s31, v8
	;; [unrolled: 1-line block ×4, first 2 shown]
	v_mov_b64_e32 v[6:7], 0
	s_mov_b64 s[28:29], 0
	s_branch .LBB34_7
.LBB34_6:                               ;   in Loop: Header=BB34_7 Depth=2
	s_or_b64 exec, exec, s[0:1]
	v_cmp_le_i32_e32 vcc, v16, v17
	s_nop 1
	v_addc_co_u32_e32 v10, vcc, 0, v10, vcc
	v_cmp_ge_i32_e32 vcc, v16, v17
	s_nop 1
	v_addc_co_u32_e32 v8, vcc, 0, v8, vcc
	v_cmp_ge_i32_e32 vcc, v10, v15
	v_cmp_ge_i32_e64 s[0:1], v8, v14
	s_or_b64 s[0:1], vcc, s[0:1]
	s_and_b64 s[0:1], exec, s[0:1]
	s_or_b64 s[28:29], s[0:1], s[28:29]
	s_andn2_b64 exec, exec, s[28:29]
	s_cbranch_execz .LBB34_9
.LBB34_7:                               ;   Parent Loop BB34_3 Depth=1
                                        ; =>  This Inner Loop Header: Depth=2
	v_ashrrev_i32_e32 v11, 31, v10
	v_ashrrev_i32_e32 v9, 31, v8
	v_lshl_add_u64 v[16:17], v[10:11], 2, s[16:17]
	v_lshl_add_u64 v[18:19], v[8:9], 2, s[6:7]
	global_load_dword v16, v[16:17], off
	s_nop 0
	global_load_dword v17, v[18:19], off
	s_waitcnt vmcnt(0)
	v_cmp_eq_u32_e32 vcc, v16, v17
	s_and_saveexec_b64 s[0:1], vcc
	s_cbranch_execz .LBB34_6
; %bb.8:                                ;   in Loop: Header=BB34_7 Depth=2
	v_lshl_add_u64 v[18:19], v[8:9], 2, s[8:9]
	global_load_dword v18, v[18:19], off
	v_lshl_add_u64 v[20:21], v[10:11], 3, s[10:11]
	global_load_dwordx2 v[20:21], v[20:21], off
	s_waitcnt vmcnt(1)
	v_ashrrev_i32_e32 v19, 31, v18
	v_lshl_add_u64 v[18:19], v[18:19], 3, s[10:11]
	global_load_dwordx2 v[18:19], v[18:19], off
	s_waitcnt vmcnt(0)
	v_fmac_f64_e32 v[6:7], v[20:21], v[18:19]
	s_branch .LBB34_6
.LBB34_9:                               ;   in Loop: Header=BB34_3 Depth=1
	s_or_b64 exec, exec, s[28:29]
.LBB34_10:                              ;   in Loop: Header=BB34_3 Depth=1
	s_or_b64 exec, exec, s[26:27]
	v_add_f64 v[2:3], v[2:3], -v[6:7]
	s_waitcnt vmcnt(0)
	v_div_scale_f64 v[6:7], s[0:1], v[4:5], v[4:5], v[2:3]
	v_rcp_f64_e32 v[8:9], v[6:7]
	v_div_scale_f64 v[10:11], vcc, v[2:3], v[4:5], v[2:3]
	v_fma_f64 v[14:15], -v[6:7], v[8:9], 1.0
	v_fmac_f64_e32 v[8:9], v[8:9], v[14:15]
	v_fma_f64 v[14:15], -v[6:7], v[8:9], 1.0
	v_fmac_f64_e32 v[8:9], v[8:9], v[14:15]
	v_mul_f64 v[14:15], v[10:11], v[8:9]
	v_fma_f64 v[6:7], -v[6:7], v[14:15], v[10:11]
	v_div_fmas_f64 v[6:7], v[6:7], v[8:9], v[14:15]
	v_div_fixup_f64 v[4:5], v[6:7], v[4:5], v[2:3]
	v_cmp_gt_i32_e32 vcc, v13, v12
	s_nop 1
	v_cndmask_b32_e32 v3, v3, v5, vcc
	v_cndmask_b32_e32 v2, v2, v4, vcc
	v_cmp_class_f64_e64 s[0:1], v[2:3], s34
	s_and_b64 exec, exec, s[0:1]
	s_cbranch_execz .LBB34_2
; %bb.11:                               ;   in Loop: Header=BB34_3 Depth=1
	v_lshl_add_u64 v[4:5], v[0:1], 3, s[10:11]
	global_store_dwordx2 v[4:5], v[2:3], off
	s_branch .LBB34_2
.LBB34_12:
	s_endpgm
	.section	.rodata,"a",@progbits
	.p2align	6, 0x0
	.amdhsa_kernel _ZN9rocsparseL20kernel_calculate_cooILi1024ELi32ELb0EdiiEEvT4_T3_PKS1_S4_PKT2_21rocsparse_index_base_PKS2_SA_S4_SA_SA_S4_SA_PS5_PNS_15floating_traitsIS5_E6data_tEPKSE_
		.amdhsa_group_segment_fixed_size 0
		.amdhsa_private_segment_fixed_size 0
		.amdhsa_kernarg_size 120
		.amdhsa_user_sgpr_count 2
		.amdhsa_user_sgpr_dispatch_ptr 0
		.amdhsa_user_sgpr_queue_ptr 0
		.amdhsa_user_sgpr_kernarg_segment_ptr 1
		.amdhsa_user_sgpr_dispatch_id 0
		.amdhsa_user_sgpr_kernarg_preload_length 0
		.amdhsa_user_sgpr_kernarg_preload_offset 0
		.amdhsa_user_sgpr_private_segment_size 0
		.amdhsa_uses_dynamic_stack 0
		.amdhsa_enable_private_segment 0
		.amdhsa_system_sgpr_workgroup_id_x 1
		.amdhsa_system_sgpr_workgroup_id_y 0
		.amdhsa_system_sgpr_workgroup_id_z 0
		.amdhsa_system_sgpr_workgroup_info 0
		.amdhsa_system_vgpr_workitem_id 0
		.amdhsa_next_free_vgpr 22
		.amdhsa_next_free_sgpr 35
		.amdhsa_accum_offset 24
		.amdhsa_reserve_vcc 1
		.amdhsa_float_round_mode_32 0
		.amdhsa_float_round_mode_16_64 0
		.amdhsa_float_denorm_mode_32 3
		.amdhsa_float_denorm_mode_16_64 3
		.amdhsa_dx10_clamp 1
		.amdhsa_ieee_mode 1
		.amdhsa_fp16_overflow 0
		.amdhsa_tg_split 0
		.amdhsa_exception_fp_ieee_invalid_op 0
		.amdhsa_exception_fp_denorm_src 0
		.amdhsa_exception_fp_ieee_div_zero 0
		.amdhsa_exception_fp_ieee_overflow 0
		.amdhsa_exception_fp_ieee_underflow 0
		.amdhsa_exception_fp_ieee_inexact 0
		.amdhsa_exception_int_div_zero 0
	.end_amdhsa_kernel
	.section	.text._ZN9rocsparseL20kernel_calculate_cooILi1024ELi32ELb0EdiiEEvT4_T3_PKS1_S4_PKT2_21rocsparse_index_base_PKS2_SA_S4_SA_SA_S4_SA_PS5_PNS_15floating_traitsIS5_E6data_tEPKSE_,"axG",@progbits,_ZN9rocsparseL20kernel_calculate_cooILi1024ELi32ELb0EdiiEEvT4_T3_PKS1_S4_PKT2_21rocsparse_index_base_PKS2_SA_S4_SA_SA_S4_SA_PS5_PNS_15floating_traitsIS5_E6data_tEPKSE_,comdat
.Lfunc_end34:
	.size	_ZN9rocsparseL20kernel_calculate_cooILi1024ELi32ELb0EdiiEEvT4_T3_PKS1_S4_PKT2_21rocsparse_index_base_PKS2_SA_S4_SA_SA_S4_SA_PS5_PNS_15floating_traitsIS5_E6data_tEPKSE_, .Lfunc_end34-_ZN9rocsparseL20kernel_calculate_cooILi1024ELi32ELb0EdiiEEvT4_T3_PKS1_S4_PKT2_21rocsparse_index_base_PKS2_SA_S4_SA_SA_S4_SA_PS5_PNS_15floating_traitsIS5_E6data_tEPKSE_
                                        ; -- End function
	.set _ZN9rocsparseL20kernel_calculate_cooILi1024ELi32ELb0EdiiEEvT4_T3_PKS1_S4_PKT2_21rocsparse_index_base_PKS2_SA_S4_SA_SA_S4_SA_PS5_PNS_15floating_traitsIS5_E6data_tEPKSE_.num_vgpr, 22
	.set _ZN9rocsparseL20kernel_calculate_cooILi1024ELi32ELb0EdiiEEvT4_T3_PKS1_S4_PKT2_21rocsparse_index_base_PKS2_SA_S4_SA_SA_S4_SA_PS5_PNS_15floating_traitsIS5_E6data_tEPKSE_.num_agpr, 0
	.set _ZN9rocsparseL20kernel_calculate_cooILi1024ELi32ELb0EdiiEEvT4_T3_PKS1_S4_PKT2_21rocsparse_index_base_PKS2_SA_S4_SA_SA_S4_SA_PS5_PNS_15floating_traitsIS5_E6data_tEPKSE_.numbered_sgpr, 35
	.set _ZN9rocsparseL20kernel_calculate_cooILi1024ELi32ELb0EdiiEEvT4_T3_PKS1_S4_PKT2_21rocsparse_index_base_PKS2_SA_S4_SA_SA_S4_SA_PS5_PNS_15floating_traitsIS5_E6data_tEPKSE_.num_named_barrier, 0
	.set _ZN9rocsparseL20kernel_calculate_cooILi1024ELi32ELb0EdiiEEvT4_T3_PKS1_S4_PKT2_21rocsparse_index_base_PKS2_SA_S4_SA_SA_S4_SA_PS5_PNS_15floating_traitsIS5_E6data_tEPKSE_.private_seg_size, 0
	.set _ZN9rocsparseL20kernel_calculate_cooILi1024ELi32ELb0EdiiEEvT4_T3_PKS1_S4_PKT2_21rocsparse_index_base_PKS2_SA_S4_SA_SA_S4_SA_PS5_PNS_15floating_traitsIS5_E6data_tEPKSE_.uses_vcc, 1
	.set _ZN9rocsparseL20kernel_calculate_cooILi1024ELi32ELb0EdiiEEvT4_T3_PKS1_S4_PKT2_21rocsparse_index_base_PKS2_SA_S4_SA_SA_S4_SA_PS5_PNS_15floating_traitsIS5_E6data_tEPKSE_.uses_flat_scratch, 0
	.set _ZN9rocsparseL20kernel_calculate_cooILi1024ELi32ELb0EdiiEEvT4_T3_PKS1_S4_PKT2_21rocsparse_index_base_PKS2_SA_S4_SA_SA_S4_SA_PS5_PNS_15floating_traitsIS5_E6data_tEPKSE_.has_dyn_sized_stack, 0
	.set _ZN9rocsparseL20kernel_calculate_cooILi1024ELi32ELb0EdiiEEvT4_T3_PKS1_S4_PKT2_21rocsparse_index_base_PKS2_SA_S4_SA_SA_S4_SA_PS5_PNS_15floating_traitsIS5_E6data_tEPKSE_.has_recursion, 0
	.set _ZN9rocsparseL20kernel_calculate_cooILi1024ELi32ELb0EdiiEEvT4_T3_PKS1_S4_PKT2_21rocsparse_index_base_PKS2_SA_S4_SA_SA_S4_SA_PS5_PNS_15floating_traitsIS5_E6data_tEPKSE_.has_indirect_call, 0
	.section	.AMDGPU.csdata,"",@progbits
; Kernel info:
; codeLenInByte = 736
; TotalNumSgprs: 41
; NumVgprs: 22
; NumAgprs: 0
; TotalNumVgprs: 22
; ScratchSize: 0
; MemoryBound: 1
; FloatMode: 240
; IeeeMode: 1
; LDSByteSize: 0 bytes/workgroup (compile time only)
; SGPRBlocks: 5
; VGPRBlocks: 2
; NumSGPRsForWavesPerEU: 41
; NumVGPRsForWavesPerEU: 22
; AccumOffset: 24
; Occupancy: 8
; WaveLimiterHint : 1
; COMPUTE_PGM_RSRC2:SCRATCH_EN: 0
; COMPUTE_PGM_RSRC2:USER_SGPR: 2
; COMPUTE_PGM_RSRC2:TRAP_HANDLER: 0
; COMPUTE_PGM_RSRC2:TGID_X_EN: 1
; COMPUTE_PGM_RSRC2:TGID_Y_EN: 0
; COMPUTE_PGM_RSRC2:TGID_Z_EN: 0
; COMPUTE_PGM_RSRC2:TIDIG_COMP_CNT: 0
; COMPUTE_PGM_RSRC3_GFX90A:ACCUM_OFFSET: 5
; COMPUTE_PGM_RSRC3_GFX90A:TG_SPLIT: 0
	.section	.text._ZN9rocsparseL20kernel_calculate_cooILi1024ELi64ELb0EdiiEEvT4_T3_PKS1_S4_PKT2_21rocsparse_index_base_PKS2_SA_S4_SA_SA_S4_SA_PS5_PNS_15floating_traitsIS5_E6data_tEPKSE_,"axG",@progbits,_ZN9rocsparseL20kernel_calculate_cooILi1024ELi64ELb0EdiiEEvT4_T3_PKS1_S4_PKT2_21rocsparse_index_base_PKS2_SA_S4_SA_SA_S4_SA_PS5_PNS_15floating_traitsIS5_E6data_tEPKSE_,comdat
	.globl	_ZN9rocsparseL20kernel_calculate_cooILi1024ELi64ELb0EdiiEEvT4_T3_PKS1_S4_PKT2_21rocsparse_index_base_PKS2_SA_S4_SA_SA_S4_SA_PS5_PNS_15floating_traitsIS5_E6data_tEPKSE_ ; -- Begin function _ZN9rocsparseL20kernel_calculate_cooILi1024ELi64ELb0EdiiEEvT4_T3_PKS1_S4_PKT2_21rocsparse_index_base_PKS2_SA_S4_SA_SA_S4_SA_PS5_PNS_15floating_traitsIS5_E6data_tEPKSE_
	.p2align	8
	.type	_ZN9rocsparseL20kernel_calculate_cooILi1024ELi64ELb0EdiiEEvT4_T3_PKS1_S4_PKT2_21rocsparse_index_base_PKS2_SA_S4_SA_SA_S4_SA_PS5_PNS_15floating_traitsIS5_E6data_tEPKSE_,@function
_ZN9rocsparseL20kernel_calculate_cooILi1024ELi64ELb0EdiiEEvT4_T3_PKS1_S4_PKT2_21rocsparse_index_base_PKS2_SA_S4_SA_SA_S4_SA_PS5_PNS_15floating_traitsIS5_E6data_tEPKSE_: ; @_ZN9rocsparseL20kernel_calculate_cooILi1024ELi64ELb0EdiiEEvT4_T3_PKS1_S4_PKT2_21rocsparse_index_base_PKS2_SA_S4_SA_SA_S4_SA_PS5_PNS_15floating_traitsIS5_E6data_tEPKSE_
; %bb.0:
	s_load_dword s30, s[0:1], 0x4
	v_lshl_or_b32 v0, s2, 16, v0
	s_waitcnt lgkmcnt(0)
	v_cmp_gt_i32_e32 vcc, s30, v0
	s_and_saveexec_b64 s[2:3], vcc
	s_cbranch_execz .LBB35_12
; %bb.1:
	s_load_dwordx8 s[4:11], s[0:1], 0x48
	s_load_dwordx4 s[20:23], s[0:1], 0x8
	s_load_dwordx2 s[2:3], s[0:1], 0x18
	s_load_dwordx8 s[12:19], s[0:1], 0x28
	s_load_dword s31, s[0:1], 0x20
	s_mov_b32 s33, 0
	s_movk_i32 s34, 0x1f8
	s_branch .LBB35_3
.LBB35_2:                               ;   in Loop: Header=BB35_3 Depth=1
	s_or_b64 exec, exec, s[24:25]
	s_add_i32 s33, s33, 1
	s_cmp_lg_u32 s33, 64
	v_add_u32_e32 v0, 0x400, v0
	s_cbranch_scc0 .LBB35_12
.LBB35_3:                               ; =>This Loop Header: Depth=1
                                        ;     Child Loop BB35_7 Depth 2
	v_cmp_gt_i32_e32 vcc, s30, v0
	s_and_saveexec_b64 s[24:25], vcc
	s_cbranch_execz .LBB35_2
; %bb.4:                                ;   in Loop: Header=BB35_3 Depth=1
	v_ashrrev_i32_e32 v1, 31, v0
	v_lshlrev_b64 v[2:3], 2, v[0:1]
	s_waitcnt lgkmcnt(0)
	v_lshl_add_u64 v[4:5], s[22:23], 0, v[2:3]
	global_load_dword v12, v[4:5], off
	v_lshl_add_u64 v[2:3], s[20:21], 0, v[2:3]
	global_load_dword v13, v[2:3], off
	s_waitcnt vmcnt(1)
	v_subrev_u32_e32 v2, s31, v12
	v_ashrrev_i32_e32 v3, 31, v2
	v_lshlrev_b64 v[4:5], 2, v[2:3]
	v_lshl_add_u64 v[2:3], s[14:15], 0, v[4:5]
	global_load_dword v11, v[2:3], off
	s_waitcnt vmcnt(1)
	v_subrev_u32_e32 v2, s31, v13
	v_ashrrev_i32_e32 v3, 31, v2
	v_lshlrev_b64 v[6:7], 2, v[2:3]
	v_lshl_add_u64 v[2:3], s[14:15], 0, v[6:7]
	global_load_dword v8, v[2:3], off
	v_lshl_add_u64 v[2:3], v[0:1], 3, s[2:3]
	v_lshl_add_u64 v[14:15], s[4:5], 0, v[4:5]
	;; [unrolled: 1-line block ×3, first 2 shown]
	global_load_dwordx2 v[2:3], v[2:3], off
	v_lshl_add_u64 v[4:5], s[18:19], 0, v[4:5]
	global_load_dword v10, v[14:15], off
	global_load_dword v9, v[6:7], off
	s_waitcnt vmcnt(4)
	v_subrev_u32_e32 v6, s31, v11
	global_load_dword v11, v[4:5], off
	v_ashrrev_i32_e32 v7, 31, v6
	v_lshl_add_u64 v[4:5], v[6:7], 3, s[10:11]
	global_load_dwordx2 v[4:5], v[4:5], off
	v_mov_b64_e32 v[6:7], 0
	s_waitcnt vmcnt(2)
	v_cmp_lt_i32_e32 vcc, v9, v8
	s_waitcnt vmcnt(1)
	v_cmp_lt_i32_e64 s[0:1], v11, v10
	s_and_b64 s[0:1], vcc, s[0:1]
	s_and_saveexec_b64 s[26:27], s[0:1]
	s_cbranch_execz .LBB35_10
; %bb.5:                                ;   in Loop: Header=BB35_3 Depth=1
	v_subrev_u32_e32 v14, s31, v10
	v_subrev_u32_e32 v15, s31, v8
	;; [unrolled: 1-line block ×4, first 2 shown]
	v_mov_b64_e32 v[6:7], 0
	s_mov_b64 s[28:29], 0
	s_branch .LBB35_7
.LBB35_6:                               ;   in Loop: Header=BB35_7 Depth=2
	s_or_b64 exec, exec, s[0:1]
	v_cmp_le_i32_e32 vcc, v16, v17
	s_nop 1
	v_addc_co_u32_e32 v10, vcc, 0, v10, vcc
	v_cmp_ge_i32_e32 vcc, v16, v17
	s_nop 1
	v_addc_co_u32_e32 v8, vcc, 0, v8, vcc
	v_cmp_ge_i32_e32 vcc, v10, v15
	v_cmp_ge_i32_e64 s[0:1], v8, v14
	s_or_b64 s[0:1], vcc, s[0:1]
	s_and_b64 s[0:1], exec, s[0:1]
	s_or_b64 s[28:29], s[0:1], s[28:29]
	s_andn2_b64 exec, exec, s[28:29]
	s_cbranch_execz .LBB35_9
.LBB35_7:                               ;   Parent Loop BB35_3 Depth=1
                                        ; =>  This Inner Loop Header: Depth=2
	v_ashrrev_i32_e32 v11, 31, v10
	v_ashrrev_i32_e32 v9, 31, v8
	v_lshl_add_u64 v[16:17], v[10:11], 2, s[16:17]
	v_lshl_add_u64 v[18:19], v[8:9], 2, s[6:7]
	global_load_dword v16, v[16:17], off
	s_nop 0
	global_load_dword v17, v[18:19], off
	s_waitcnt vmcnt(0)
	v_cmp_eq_u32_e32 vcc, v16, v17
	s_and_saveexec_b64 s[0:1], vcc
	s_cbranch_execz .LBB35_6
; %bb.8:                                ;   in Loop: Header=BB35_7 Depth=2
	v_lshl_add_u64 v[18:19], v[8:9], 2, s[8:9]
	global_load_dword v18, v[18:19], off
	v_lshl_add_u64 v[20:21], v[10:11], 3, s[10:11]
	global_load_dwordx2 v[20:21], v[20:21], off
	s_waitcnt vmcnt(1)
	v_ashrrev_i32_e32 v19, 31, v18
	v_lshl_add_u64 v[18:19], v[18:19], 3, s[10:11]
	global_load_dwordx2 v[18:19], v[18:19], off
	s_waitcnt vmcnt(0)
	v_fmac_f64_e32 v[6:7], v[20:21], v[18:19]
	s_branch .LBB35_6
.LBB35_9:                               ;   in Loop: Header=BB35_3 Depth=1
	s_or_b64 exec, exec, s[28:29]
.LBB35_10:                              ;   in Loop: Header=BB35_3 Depth=1
	s_or_b64 exec, exec, s[26:27]
	v_add_f64 v[2:3], v[2:3], -v[6:7]
	s_waitcnt vmcnt(0)
	v_div_scale_f64 v[6:7], s[0:1], v[4:5], v[4:5], v[2:3]
	v_rcp_f64_e32 v[8:9], v[6:7]
	v_div_scale_f64 v[10:11], vcc, v[2:3], v[4:5], v[2:3]
	v_fma_f64 v[14:15], -v[6:7], v[8:9], 1.0
	v_fmac_f64_e32 v[8:9], v[8:9], v[14:15]
	v_fma_f64 v[14:15], -v[6:7], v[8:9], 1.0
	v_fmac_f64_e32 v[8:9], v[8:9], v[14:15]
	v_mul_f64 v[14:15], v[10:11], v[8:9]
	v_fma_f64 v[6:7], -v[6:7], v[14:15], v[10:11]
	v_div_fmas_f64 v[6:7], v[6:7], v[8:9], v[14:15]
	v_div_fixup_f64 v[4:5], v[6:7], v[4:5], v[2:3]
	v_cmp_gt_i32_e32 vcc, v13, v12
	s_nop 1
	v_cndmask_b32_e32 v3, v3, v5, vcc
	v_cndmask_b32_e32 v2, v2, v4, vcc
	v_cmp_class_f64_e64 s[0:1], v[2:3], s34
	s_and_b64 exec, exec, s[0:1]
	s_cbranch_execz .LBB35_2
; %bb.11:                               ;   in Loop: Header=BB35_3 Depth=1
	v_lshl_add_u64 v[4:5], v[0:1], 3, s[10:11]
	global_store_dwordx2 v[4:5], v[2:3], off
	s_branch .LBB35_2
.LBB35_12:
	s_endpgm
	.section	.rodata,"a",@progbits
	.p2align	6, 0x0
	.amdhsa_kernel _ZN9rocsparseL20kernel_calculate_cooILi1024ELi64ELb0EdiiEEvT4_T3_PKS1_S4_PKT2_21rocsparse_index_base_PKS2_SA_S4_SA_SA_S4_SA_PS5_PNS_15floating_traitsIS5_E6data_tEPKSE_
		.amdhsa_group_segment_fixed_size 0
		.amdhsa_private_segment_fixed_size 0
		.amdhsa_kernarg_size 120
		.amdhsa_user_sgpr_count 2
		.amdhsa_user_sgpr_dispatch_ptr 0
		.amdhsa_user_sgpr_queue_ptr 0
		.amdhsa_user_sgpr_kernarg_segment_ptr 1
		.amdhsa_user_sgpr_dispatch_id 0
		.amdhsa_user_sgpr_kernarg_preload_length 0
		.amdhsa_user_sgpr_kernarg_preload_offset 0
		.amdhsa_user_sgpr_private_segment_size 0
		.amdhsa_uses_dynamic_stack 0
		.amdhsa_enable_private_segment 0
		.amdhsa_system_sgpr_workgroup_id_x 1
		.amdhsa_system_sgpr_workgroup_id_y 0
		.amdhsa_system_sgpr_workgroup_id_z 0
		.amdhsa_system_sgpr_workgroup_info 0
		.amdhsa_system_vgpr_workitem_id 0
		.amdhsa_next_free_vgpr 22
		.amdhsa_next_free_sgpr 35
		.amdhsa_accum_offset 24
		.amdhsa_reserve_vcc 1
		.amdhsa_float_round_mode_32 0
		.amdhsa_float_round_mode_16_64 0
		.amdhsa_float_denorm_mode_32 3
		.amdhsa_float_denorm_mode_16_64 3
		.amdhsa_dx10_clamp 1
		.amdhsa_ieee_mode 1
		.amdhsa_fp16_overflow 0
		.amdhsa_tg_split 0
		.amdhsa_exception_fp_ieee_invalid_op 0
		.amdhsa_exception_fp_denorm_src 0
		.amdhsa_exception_fp_ieee_div_zero 0
		.amdhsa_exception_fp_ieee_overflow 0
		.amdhsa_exception_fp_ieee_underflow 0
		.amdhsa_exception_fp_ieee_inexact 0
		.amdhsa_exception_int_div_zero 0
	.end_amdhsa_kernel
	.section	.text._ZN9rocsparseL20kernel_calculate_cooILi1024ELi64ELb0EdiiEEvT4_T3_PKS1_S4_PKT2_21rocsparse_index_base_PKS2_SA_S4_SA_SA_S4_SA_PS5_PNS_15floating_traitsIS5_E6data_tEPKSE_,"axG",@progbits,_ZN9rocsparseL20kernel_calculate_cooILi1024ELi64ELb0EdiiEEvT4_T3_PKS1_S4_PKT2_21rocsparse_index_base_PKS2_SA_S4_SA_SA_S4_SA_PS5_PNS_15floating_traitsIS5_E6data_tEPKSE_,comdat
.Lfunc_end35:
	.size	_ZN9rocsparseL20kernel_calculate_cooILi1024ELi64ELb0EdiiEEvT4_T3_PKS1_S4_PKT2_21rocsparse_index_base_PKS2_SA_S4_SA_SA_S4_SA_PS5_PNS_15floating_traitsIS5_E6data_tEPKSE_, .Lfunc_end35-_ZN9rocsparseL20kernel_calculate_cooILi1024ELi64ELb0EdiiEEvT4_T3_PKS1_S4_PKT2_21rocsparse_index_base_PKS2_SA_S4_SA_SA_S4_SA_PS5_PNS_15floating_traitsIS5_E6data_tEPKSE_
                                        ; -- End function
	.set _ZN9rocsparseL20kernel_calculate_cooILi1024ELi64ELb0EdiiEEvT4_T3_PKS1_S4_PKT2_21rocsparse_index_base_PKS2_SA_S4_SA_SA_S4_SA_PS5_PNS_15floating_traitsIS5_E6data_tEPKSE_.num_vgpr, 22
	.set _ZN9rocsparseL20kernel_calculate_cooILi1024ELi64ELb0EdiiEEvT4_T3_PKS1_S4_PKT2_21rocsparse_index_base_PKS2_SA_S4_SA_SA_S4_SA_PS5_PNS_15floating_traitsIS5_E6data_tEPKSE_.num_agpr, 0
	.set _ZN9rocsparseL20kernel_calculate_cooILi1024ELi64ELb0EdiiEEvT4_T3_PKS1_S4_PKT2_21rocsparse_index_base_PKS2_SA_S4_SA_SA_S4_SA_PS5_PNS_15floating_traitsIS5_E6data_tEPKSE_.numbered_sgpr, 35
	.set _ZN9rocsparseL20kernel_calculate_cooILi1024ELi64ELb0EdiiEEvT4_T3_PKS1_S4_PKT2_21rocsparse_index_base_PKS2_SA_S4_SA_SA_S4_SA_PS5_PNS_15floating_traitsIS5_E6data_tEPKSE_.num_named_barrier, 0
	.set _ZN9rocsparseL20kernel_calculate_cooILi1024ELi64ELb0EdiiEEvT4_T3_PKS1_S4_PKT2_21rocsparse_index_base_PKS2_SA_S4_SA_SA_S4_SA_PS5_PNS_15floating_traitsIS5_E6data_tEPKSE_.private_seg_size, 0
	.set _ZN9rocsparseL20kernel_calculate_cooILi1024ELi64ELb0EdiiEEvT4_T3_PKS1_S4_PKT2_21rocsparse_index_base_PKS2_SA_S4_SA_SA_S4_SA_PS5_PNS_15floating_traitsIS5_E6data_tEPKSE_.uses_vcc, 1
	.set _ZN9rocsparseL20kernel_calculate_cooILi1024ELi64ELb0EdiiEEvT4_T3_PKS1_S4_PKT2_21rocsparse_index_base_PKS2_SA_S4_SA_SA_S4_SA_PS5_PNS_15floating_traitsIS5_E6data_tEPKSE_.uses_flat_scratch, 0
	.set _ZN9rocsparseL20kernel_calculate_cooILi1024ELi64ELb0EdiiEEvT4_T3_PKS1_S4_PKT2_21rocsparse_index_base_PKS2_SA_S4_SA_SA_S4_SA_PS5_PNS_15floating_traitsIS5_E6data_tEPKSE_.has_dyn_sized_stack, 0
	.set _ZN9rocsparseL20kernel_calculate_cooILi1024ELi64ELb0EdiiEEvT4_T3_PKS1_S4_PKT2_21rocsparse_index_base_PKS2_SA_S4_SA_SA_S4_SA_PS5_PNS_15floating_traitsIS5_E6data_tEPKSE_.has_recursion, 0
	.set _ZN9rocsparseL20kernel_calculate_cooILi1024ELi64ELb0EdiiEEvT4_T3_PKS1_S4_PKT2_21rocsparse_index_base_PKS2_SA_S4_SA_SA_S4_SA_PS5_PNS_15floating_traitsIS5_E6data_tEPKSE_.has_indirect_call, 0
	.section	.AMDGPU.csdata,"",@progbits
; Kernel info:
; codeLenInByte = 736
; TotalNumSgprs: 41
; NumVgprs: 22
; NumAgprs: 0
; TotalNumVgprs: 22
; ScratchSize: 0
; MemoryBound: 1
; FloatMode: 240
; IeeeMode: 1
; LDSByteSize: 0 bytes/workgroup (compile time only)
; SGPRBlocks: 5
; VGPRBlocks: 2
; NumSGPRsForWavesPerEU: 41
; NumVGPRsForWavesPerEU: 22
; AccumOffset: 24
; Occupancy: 8
; WaveLimiterHint : 1
; COMPUTE_PGM_RSRC2:SCRATCH_EN: 0
; COMPUTE_PGM_RSRC2:USER_SGPR: 2
; COMPUTE_PGM_RSRC2:TRAP_HANDLER: 0
; COMPUTE_PGM_RSRC2:TGID_X_EN: 1
; COMPUTE_PGM_RSRC2:TGID_Y_EN: 0
; COMPUTE_PGM_RSRC2:TGID_Z_EN: 0
; COMPUTE_PGM_RSRC2:TIDIG_COMP_CNT: 0
; COMPUTE_PGM_RSRC3_GFX90A:ACCUM_OFFSET: 5
; COMPUTE_PGM_RSRC3_GFX90A:TG_SPLIT: 0
	.section	.text._ZN9rocsparseL20kernel_calculate_cooILi1024ELi32ELb1E21rocsparse_complex_numIfEiiEEvT4_T3_PKS3_S6_PKT2_21rocsparse_index_base_PKS4_SC_S6_SC_SC_S6_SC_PS7_PNS_15floating_traitsIS7_E6data_tEPKSG_,"axG",@progbits,_ZN9rocsparseL20kernel_calculate_cooILi1024ELi32ELb1E21rocsparse_complex_numIfEiiEEvT4_T3_PKS3_S6_PKT2_21rocsparse_index_base_PKS4_SC_S6_SC_SC_S6_SC_PS7_PNS_15floating_traitsIS7_E6data_tEPKSG_,comdat
	.globl	_ZN9rocsparseL20kernel_calculate_cooILi1024ELi32ELb1E21rocsparse_complex_numIfEiiEEvT4_T3_PKS3_S6_PKT2_21rocsparse_index_base_PKS4_SC_S6_SC_SC_S6_SC_PS7_PNS_15floating_traitsIS7_E6data_tEPKSG_ ; -- Begin function _ZN9rocsparseL20kernel_calculate_cooILi1024ELi32ELb1E21rocsparse_complex_numIfEiiEEvT4_T3_PKS3_S6_PKT2_21rocsparse_index_base_PKS4_SC_S6_SC_SC_S6_SC_PS7_PNS_15floating_traitsIS7_E6data_tEPKSG_
	.p2align	8
	.type	_ZN9rocsparseL20kernel_calculate_cooILi1024ELi32ELb1E21rocsparse_complex_numIfEiiEEvT4_T3_PKS3_S6_PKT2_21rocsparse_index_base_PKS4_SC_S6_SC_SC_S6_SC_PS7_PNS_15floating_traitsIS7_E6data_tEPKSG_,@function
_ZN9rocsparseL20kernel_calculate_cooILi1024ELi32ELb1E21rocsparse_complex_numIfEiiEEvT4_T3_PKS3_S6_PKT2_21rocsparse_index_base_PKS4_SC_S6_SC_SC_S6_SC_PS7_PNS_15floating_traitsIS7_E6data_tEPKSG_: ; @_ZN9rocsparseL20kernel_calculate_cooILi1024ELi32ELb1E21rocsparse_complex_numIfEiiEEvT4_T3_PKS3_S6_PKT2_21rocsparse_index_base_PKS4_SC_S6_SC_SC_S6_SC_PS7_PNS_15floating_traitsIS7_E6data_tEPKSG_
; %bb.0:
	s_load_dword s33, s[0:1], 0x4
	v_lshl_or_b32 v2, s2, 16, v0
	v_mov_b32_e32 v1, 0
	s_waitcnt lgkmcnt(0)
	v_cmp_gt_i32_e32 vcc, s33, v2
	s_and_saveexec_b64 s[24:25], vcc
	s_cbranch_execz .LBB36_43
; %bb.1:
	s_load_dwordx8 s[4:11], s[0:1], 0x48
	s_load_dwordx4 s[20:23], s[0:1], 0x8
	s_load_dwordx2 s[26:27], s[0:1], 0x18
	s_load_dwordx8 s[12:19], s[0:1], 0x28
	s_load_dword s42, s[0:1], 0x20
	v_mov_b32_e32 v1, 0
	s_mov_b32 s43, 0
	s_mov_b32 s44, 0xf800000
	v_mov_b32_e32 v18, 0x260
	s_mov_b32 s45, 0x7f800000
	s_movk_i32 s46, 0x1f8
	s_branch .LBB36_4
.LBB36_2:                               ;   in Loop: Header=BB36_4 Depth=1
	s_or_b64 exec, exec, s[30:31]
	s_or_b64 vcc, s[2:3], vcc
	v_cndmask_b32_e32 v1, v6, v1, vcc
.LBB36_3:                               ;   in Loop: Header=BB36_4 Depth=1
	s_or_b64 exec, exec, s[28:29]
	s_add_i32 s43, s43, 1
	s_cmp_lg_u32 s43, 64
	v_add_u32_e32 v2, 0x400, v2
	s_cbranch_scc0 .LBB36_43
.LBB36_4:                               ; =>This Loop Header: Depth=1
                                        ;     Child Loop BB36_8 Depth 2
                                        ;     Child Loop BB36_16 Depth 2
	;; [unrolled: 1-line block ×3, first 2 shown]
	v_cmp_gt_i32_e32 vcc, s33, v2
	s_and_saveexec_b64 s[28:29], vcc
	s_cbranch_execz .LBB36_3
; %bb.5:                                ;   in Loop: Header=BB36_4 Depth=1
	v_ashrrev_i32_e32 v3, 31, v2
	v_lshlrev_b64 v[4:5], 2, v[2:3]
	s_waitcnt lgkmcnt(0)
	v_lshl_add_u64 v[6:7], s[22:23], 0, v[4:5]
	global_load_dword v19, v[6:7], off
	v_lshl_add_u64 v[4:5], s[20:21], 0, v[4:5]
	global_load_dword v20, v[4:5], off
	s_waitcnt vmcnt(1)
	v_subrev_u32_e32 v4, s42, v19
	v_ashrrev_i32_e32 v5, 31, v4
	v_lshlrev_b64 v[4:5], 2, v[4:5]
	v_lshl_add_u64 v[6:7], s[14:15], 0, v[4:5]
	global_load_dword v10, v[6:7], off
	s_waitcnt vmcnt(1)
	v_subrev_u32_e32 v6, s42, v20
	v_ashrrev_i32_e32 v7, 31, v6
	v_lshlrev_b64 v[6:7], 2, v[6:7]
	v_lshl_add_u64 v[8:9], s[14:15], 0, v[6:7]
	global_load_dword v11, v[8:9], off
	v_lshl_add_u64 v[8:9], s[4:5], 0, v[4:5]
	v_lshl_add_u64 v[4:5], s[18:19], 0, v[4:5]
	global_load_dword v15, v[4:5], off
	v_lshl_add_u64 v[4:5], v[2:3], 3, s[26:27]
	v_lshl_add_u64 v[6:7], s[12:13], 0, v[6:7]
	global_load_dwordx2 v[12:13], v[4:5], off
	global_load_dword v14, v[6:7], off
	s_waitcnt vmcnt(4)
	v_subrev_u32_e32 v4, s42, v10
	global_load_dword v9, v[8:9], off
	v_ashrrev_i32_e32 v5, 31, v4
	v_lshl_add_u64 v[4:5], v[4:5], 3, s[10:11]
	global_load_dwordx2 v[6:7], v[4:5], off
	s_waitcnt vmcnt(5)
	v_subrev_u32_e32 v21, s42, v11
	s_waitcnt vmcnt(4)
	v_subrev_u32_e32 v10, s42, v15
	s_waitcnt vmcnt(2)
	v_cmp_lt_i32_e32 vcc, v14, v11
	v_subrev_u32_e32 v8, s42, v14
	s_waitcnt vmcnt(1)
	v_cmp_lt_i32_e64 s[2:3], v15, v9
	v_mov_b32_e32 v15, 0
	v_subrev_u32_e32 v22, s42, v9
	s_and_b64 s[2:3], vcc, s[2:3]
	v_mov_b32_e32 v14, v15
	s_and_saveexec_b64 s[30:31], s[2:3]
	s_cbranch_execz .LBB36_11
; %bb.6:                                ;   in Loop: Header=BB36_4 Depth=1
	v_mov_b32_e32 v14, 0
	s_mov_b64 s[34:35], 0
	v_mov_b32_e32 v15, v14
	s_branch .LBB36_8
.LBB36_7:                               ;   in Loop: Header=BB36_8 Depth=2
	s_or_b64 exec, exec, s[2:3]
	v_cmp_le_i32_e32 vcc, v4, v5
	s_nop 1
	v_addc_co_u32_e32 v8, vcc, 0, v8, vcc
	v_cmp_ge_i32_e32 vcc, v4, v5
	s_nop 1
	v_addc_co_u32_e32 v10, vcc, 0, v10, vcc
	v_cmp_ge_i32_e32 vcc, v8, v21
	v_cmp_ge_i32_e64 s[2:3], v10, v22
	s_or_b64 s[2:3], vcc, s[2:3]
	s_and_b64 s[2:3], exec, s[2:3]
	s_or_b64 s[34:35], s[2:3], s[34:35]
	s_andn2_b64 exec, exec, s[34:35]
	s_cbranch_execz .LBB36_10
.LBB36_8:                               ;   Parent Loop BB36_4 Depth=1
                                        ; =>  This Inner Loop Header: Depth=2
	v_ashrrev_i32_e32 v9, 31, v8
	v_ashrrev_i32_e32 v11, 31, v10
	v_lshl_add_u64 v[4:5], v[8:9], 2, s[16:17]
	v_lshl_add_u64 v[16:17], v[10:11], 2, s[6:7]
	global_load_dword v4, v[4:5], off
	s_nop 0
	global_load_dword v5, v[16:17], off
	s_waitcnt vmcnt(0)
	v_cmp_eq_u32_e32 vcc, v4, v5
	s_and_saveexec_b64 s[2:3], vcc
	s_cbranch_execz .LBB36_7
; %bb.9:                                ;   in Loop: Header=BB36_8 Depth=2
	v_lshl_add_u64 v[16:17], v[10:11], 2, s[8:9]
	global_load_dword v16, v[16:17], off
	v_lshl_add_u64 v[24:25], v[8:9], 3, s[10:11]
	global_load_dwordx2 v[24:25], v[24:25], off
	s_waitcnt vmcnt(1)
	v_ashrrev_i32_e32 v17, 31, v16
	v_lshl_add_u64 v[16:17], v[16:17], 3, s[10:11]
	global_load_dwordx2 v[16:17], v[16:17], off
	s_waitcnt vmcnt(1)
	v_xor_b32_e32 v26, 0x80000000, v25
	v_mov_b32_e32 v27, v24
	s_waitcnt vmcnt(0)
	v_pk_fma_f32 v[14:15], v[24:25], v[16:17], v[14:15] op_sel_hi:[1,0,1]
	s_nop 0
	v_pk_fma_f32 v[14:15], v[26:27], v[16:17], v[14:15] op_sel:[0,1,0]
	s_branch .LBB36_7
.LBB36_10:                              ;   in Loop: Header=BB36_4 Depth=1
	s_or_b64 exec, exec, s[34:35]
.LBB36_11:                              ;   in Loop: Header=BB36_4 Depth=1
	s_or_b64 exec, exec, s[30:31]
	v_pk_add_f32 v[4:5], v[12:13], v[14:15] neg_lo:[0,1] neg_hi:[0,1]
	v_cmp_gt_i32_e32 vcc, v20, v19
	s_and_saveexec_b64 s[2:3], vcc
	s_cbranch_execz .LBB36_13
; %bb.12:                               ;   in Loop: Header=BB36_4 Depth=1
	s_waitcnt vmcnt(0)
	v_mul_f32_e32 v9, v7, v7
	v_fmac_f32_e32 v9, v6, v6
	v_div_scale_f32 v11, s[30:31], v9, v9, 1.0
	v_rcp_f32_e32 v16, v11
	v_div_scale_f32 v17, vcc, 1.0, v9, 1.0
	v_xor_b32_e32 v25, 0x80000000, v4
	v_fma_f32 v23, -v11, v16, 1.0
	v_fmac_f32_e32 v16, v23, v16
	v_mul_f32_e32 v23, v17, v16
	v_fma_f32 v24, -v11, v23, v17
	v_fmac_f32_e32 v23, v24, v16
	v_fma_f32 v11, -v11, v23, v17
	v_mov_b32_e32 v26, v7
	v_mov_b32_e32 v24, v5
	v_div_fmas_f32 v11, v11, v16, v23
	v_pk_mul_f32 v[24:25], v[26:27], v[24:25] op_sel_hi:[0,1]
	v_div_fixup_f32 v16, v11, v9, 1.0
	v_pk_fma_f32 v[4:5], v[4:5], v[6:7], v[24:25] op_sel_hi:[1,0,1]
	s_nop 0
	v_pk_mul_f32 v[4:5], v[16:17], v[4:5] op_sel_hi:[0,1]
.LBB36_13:                              ;   in Loop: Header=BB36_4 Depth=1
	s_or_b64 exec, exec, s[2:3]
	v_pk_add_f32 v[12:13], v[14:15], v[12:13] neg_lo:[0,1] neg_hi:[0,1]
	v_cmp_lt_i32_e32 vcc, v10, v22
	s_and_saveexec_b64 s[2:3], vcc
	s_cbranch_execz .LBB36_21
; %bb.14:                               ;   in Loop: Header=BB36_4 Depth=1
	v_ashrrev_i32_e32 v11, 31, v10
	v_lshl_add_u64 v[14:15], v[10:11], 2, s[6:7]
	s_mov_b64 s[30:31], 0
                                        ; implicit-def: $sgpr34_sgpr35
                                        ; implicit-def: $sgpr38_sgpr39
                                        ; implicit-def: $sgpr36_sgpr37
	s_branch .LBB36_16
.LBB36_15:                              ;   in Loop: Header=BB36_16 Depth=2
	s_or_b64 exec, exec, s[40:41]
	s_and_b64 s[40:41], exec, s[38:39]
	s_or_b64 s[30:31], s[40:41], s[30:31]
	s_andn2_b64 s[34:35], s[34:35], exec
	s_and_b64 s[40:41], s[36:37], exec
	s_or_b64 s[34:35], s[34:35], s[40:41]
	s_andn2_b64 exec, exec, s[30:31]
	s_cbranch_execz .LBB36_18
.LBB36_16:                              ;   Parent Loop BB36_4 Depth=1
                                        ; =>  This Inner Loop Header: Depth=2
	global_load_dword v9, v[14:15], off
	v_mov_b64_e32 v[16:17], v[10:11]
	s_or_b64 s[36:37], s[36:37], exec
	s_or_b64 s[38:39], s[38:39], exec
                                        ; implicit-def: $vgpr10_vgpr11
	s_waitcnt vmcnt(0)
	v_cmp_ne_u32_e32 vcc, v9, v20
	s_and_saveexec_b64 s[40:41], vcc
	s_cbranch_execz .LBB36_15
; %bb.17:                               ;   in Loop: Header=BB36_16 Depth=2
	v_lshl_add_u64 v[10:11], v[16:17], 0, 1
	v_cmp_ge_i32_e32 vcc, v10, v22
	s_andn2_b64 s[38:39], s[38:39], exec
	s_and_b64 s[48:49], vcc, exec
	v_lshl_add_u64 v[14:15], v[14:15], 0, 4
	s_andn2_b64 s[36:37], s[36:37], exec
	s_or_b64 s[38:39], s[38:39], s[48:49]
	s_branch .LBB36_15
.LBB36_18:                              ;   in Loop: Header=BB36_4 Depth=1
	s_or_b64 exec, exec, s[30:31]
	s_and_saveexec_b64 s[30:31], s[34:35]
	s_xor_b64 s[30:31], exec, s[30:31]
	s_cbranch_execz .LBB36_20
; %bb.19:                               ;   in Loop: Header=BB36_4 Depth=1
	v_lshl_add_u64 v[10:11], v[16:17], 2, s[8:9]
	global_load_dword v10, v[10:11], off
	s_waitcnt vmcnt(0)
	v_ashrrev_i32_e32 v11, 31, v10
	v_lshl_add_u64 v[10:11], v[10:11], 3, s[10:11]
	global_load_dwordx2 v[10:11], v[10:11], off
	s_waitcnt vmcnt(0)
	v_pk_add_f32 v[12:13], v[12:13], v[10:11]
.LBB36_20:                              ;   in Loop: Header=BB36_4 Depth=1
	s_or_b64 exec, exec, s[30:31]
.LBB36_21:                              ;   in Loop: Header=BB36_4 Depth=1
	s_or_b64 exec, exec, s[2:3]
	v_cmp_lt_i32_e32 vcc, v8, v21
	s_and_saveexec_b64 s[2:3], vcc
	s_cbranch_execz .LBB36_29
; %bb.22:                               ;   in Loop: Header=BB36_4 Depth=1
	v_ashrrev_i32_e32 v9, 31, v8
	v_lshl_add_u64 v[10:11], v[8:9], 2, s[16:17]
	s_mov_b64 s[30:31], 0
                                        ; implicit-def: $sgpr34_sgpr35
                                        ; implicit-def: $sgpr38_sgpr39
                                        ; implicit-def: $sgpr36_sgpr37
	s_branch .LBB36_24
.LBB36_23:                              ;   in Loop: Header=BB36_24 Depth=2
	s_or_b64 exec, exec, s[40:41]
	s_and_b64 s[40:41], exec, s[38:39]
	s_or_b64 s[30:31], s[40:41], s[30:31]
	s_andn2_b64 s[34:35], s[34:35], exec
	s_and_b64 s[40:41], s[36:37], exec
	s_or_b64 s[34:35], s[34:35], s[40:41]
	s_andn2_b64 exec, exec, s[30:31]
	s_cbranch_execz .LBB36_26
.LBB36_24:                              ;   Parent Loop BB36_4 Depth=1
                                        ; =>  This Inner Loop Header: Depth=2
	global_load_dword v16, v[10:11], off
	v_mov_b64_e32 v[14:15], v[8:9]
	s_or_b64 s[36:37], s[36:37], exec
	s_or_b64 s[38:39], s[38:39], exec
                                        ; implicit-def: $vgpr8_vgpr9
	s_waitcnt vmcnt(0)
	v_cmp_ne_u32_e32 vcc, v16, v19
	s_and_saveexec_b64 s[40:41], vcc
	s_cbranch_execz .LBB36_23
; %bb.25:                               ;   in Loop: Header=BB36_24 Depth=2
	v_lshl_add_u64 v[8:9], v[14:15], 0, 1
	v_cmp_ge_i32_e32 vcc, v8, v21
	s_andn2_b64 s[38:39], s[38:39], exec
	s_and_b64 s[48:49], vcc, exec
	v_lshl_add_u64 v[10:11], v[10:11], 0, 4
	s_andn2_b64 s[36:37], s[36:37], exec
	s_or_b64 s[38:39], s[38:39], s[48:49]
	s_branch .LBB36_23
.LBB36_26:                              ;   in Loop: Header=BB36_4 Depth=1
	s_or_b64 exec, exec, s[30:31]
	s_and_saveexec_b64 s[30:31], s[34:35]
	s_xor_b64 s[30:31], exec, s[30:31]
	s_cbranch_execz .LBB36_28
; %bb.27:                               ;   in Loop: Header=BB36_4 Depth=1
	v_lshl_add_u64 v[8:9], v[14:15], 3, s[10:11]
	global_load_dwordx2 v[8:9], v[8:9], off
	s_waitcnt vmcnt(0)
	v_xor_b32_e32 v10, 0x80000000, v9
	v_pk_fma_f32 v[12:13], v[8:9], v[6:7], v[12:13] op_sel_hi:[1,0,1]
	v_mov_b32_e32 v11, v8
	v_mov_b32_e32 v8, v7
	v_pk_fma_f32 v[12:13], v[10:11], v[8:9], v[12:13] op_sel_hi:[1,0,1]
.LBB36_28:                              ;   in Loop: Header=BB36_4 Depth=1
	s_or_b64 exec, exec, s[30:31]
.LBB36_29:                              ;   in Loop: Header=BB36_4 Depth=1
	s_or_b64 exec, exec, s[2:3]
	s_waitcnt vmcnt(0)
	v_add_f32_e32 v6, v6, v12
	v_cmp_eq_u32_e32 vcc, v20, v19
	v_add_f32_e32 v7, v7, v13
	s_nop 0
	v_cndmask_b32_e32 v6, v12, v6, vcc
	v_cndmask_b32_e32 v9, v13, v7, vcc
	v_cmp_gt_f32_e32 vcc, 0, v6
	s_nop 1
	v_cndmask_b32_e64 v7, v6, -v6, vcc
	v_cmp_gt_f32_e32 vcc, 0, v9
                                        ; implicit-def: $vgpr6
	s_nop 1
	v_cndmask_b32_e64 v8, v9, -v9, vcc
	v_cmp_ngt_f32_e32 vcc, v7, v8
	s_and_saveexec_b64 s[2:3], vcc
	s_xor_b64 s[30:31], exec, s[2:3]
	s_cbranch_execz .LBB36_33
; %bb.30:                               ;   in Loop: Header=BB36_4 Depth=1
	v_mov_b32_e32 v6, 0
	v_cmp_neq_f32_e32 vcc, 0, v9
	s_and_saveexec_b64 s[34:35], vcc
	s_cbranch_execz .LBB36_32
; %bb.31:                               ;   in Loop: Header=BB36_4 Depth=1
	v_div_scale_f32 v6, s[2:3], v8, v8, v7
	v_rcp_f32_e32 v9, v6
	v_div_scale_f32 v10, vcc, v7, v8, v7
	v_fma_f32 v11, -v6, v9, 1.0
	v_fmac_f32_e32 v9, v11, v9
	v_mul_f32_e32 v11, v10, v9
	v_fma_f32 v12, -v6, v11, v10
	v_fmac_f32_e32 v11, v12, v9
	v_fma_f32 v6, -v6, v11, v10
	v_div_fmas_f32 v6, v6, v9, v11
	v_div_fixup_f32 v6, v6, v8, v7
	v_fma_f32 v6, v6, v6, 1.0
	v_mul_f32_e32 v7, 0x4f800000, v6
	v_cmp_gt_f32_e32 vcc, s44, v6
	s_nop 1
	v_cndmask_b32_e32 v6, v6, v7, vcc
	v_sqrt_f32_e32 v7, v6
	s_nop 0
	v_add_u32_e32 v9, -1, v7
	v_fma_f32 v10, -v9, v7, v6
	v_cmp_ge_f32_e64 s[2:3], 0, v10
	v_add_u32_e32 v10, 1, v7
	s_nop 0
	v_cndmask_b32_e64 v9, v7, v9, s[2:3]
	v_fma_f32 v7, -v10, v7, v6
	v_cmp_lt_f32_e64 s[2:3], 0, v7
	s_nop 1
	v_cndmask_b32_e64 v7, v9, v10, s[2:3]
	v_mul_f32_e32 v9, 0x37800000, v7
	v_cndmask_b32_e32 v7, v7, v9, vcc
	v_cmp_class_f32_e32 vcc, v6, v18
	s_nop 1
	v_cndmask_b32_e32 v6, v7, v6, vcc
	v_mul_f32_e32 v6, v8, v6
.LBB36_32:                              ;   in Loop: Header=BB36_4 Depth=1
	s_or_b64 exec, exec, s[34:35]
                                        ; implicit-def: $vgpr7
                                        ; implicit-def: $vgpr8
.LBB36_33:                              ;   in Loop: Header=BB36_4 Depth=1
	s_andn2_saveexec_b64 s[30:31], s[30:31]
	s_cbranch_execz .LBB36_35
; %bb.34:                               ;   in Loop: Header=BB36_4 Depth=1
	v_div_scale_f32 v6, s[2:3], v7, v7, v8
	v_rcp_f32_e32 v9, v6
	v_div_scale_f32 v10, vcc, v8, v7, v8
	v_fma_f32 v11, -v6, v9, 1.0
	v_fmac_f32_e32 v9, v11, v9
	v_mul_f32_e32 v11, v10, v9
	v_fma_f32 v12, -v6, v11, v10
	v_fmac_f32_e32 v11, v12, v9
	v_fma_f32 v6, -v6, v11, v10
	v_div_fmas_f32 v6, v6, v9, v11
	v_div_fixup_f32 v6, v6, v7, v8
	v_fma_f32 v6, v6, v6, 1.0
	v_mul_f32_e32 v8, 0x4f800000, v6
	v_cmp_gt_f32_e32 vcc, s44, v6
	s_nop 1
	v_cndmask_b32_e32 v6, v6, v8, vcc
	v_sqrt_f32_e32 v8, v6
	s_nop 0
	v_add_u32_e32 v9, -1, v8
	v_fma_f32 v10, -v9, v8, v6
	v_cmp_ge_f32_e64 s[2:3], 0, v10
	v_add_u32_e32 v10, 1, v8
	s_nop 0
	v_cndmask_b32_e64 v9, v8, v9, s[2:3]
	v_fma_f32 v8, -v10, v8, v6
	v_cmp_lt_f32_e64 s[2:3], 0, v8
	s_nop 1
	v_cndmask_b32_e64 v8, v9, v10, s[2:3]
	v_mul_f32_e32 v9, 0x37800000, v8
	v_cndmask_b32_e32 v8, v8, v9, vcc
	v_cmp_class_f32_e32 vcc, v6, v18
	s_nop 1
	v_cndmask_b32_e32 v6, v8, v6, vcc
	v_mul_f32_e32 v6, v7, v6
.LBB36_35:                              ;   in Loop: Header=BB36_4 Depth=1
	s_or_b64 exec, exec, s[30:31]
	v_cmp_gt_f32_e32 vcc, 0, v4
                                        ; implicit-def: $vgpr9
	s_nop 1
	v_cndmask_b32_e64 v7, v4, -v4, vcc
	v_cmp_gt_f32_e32 vcc, 0, v5
	s_nop 1
	v_cndmask_b32_e64 v8, v5, -v5, vcc
	v_cmp_ngt_f32_e32 vcc, v7, v8
	s_and_saveexec_b64 s[2:3], vcc
	s_xor_b64 s[30:31], exec, s[2:3]
	s_cbranch_execz .LBB36_39
; %bb.36:                               ;   in Loop: Header=BB36_4 Depth=1
	v_mov_b32_e32 v9, 0
	v_cmp_neq_f32_e32 vcc, 0, v5
	s_and_saveexec_b64 s[34:35], vcc
	s_cbranch_execz .LBB36_38
; %bb.37:                               ;   in Loop: Header=BB36_4 Depth=1
	v_div_scale_f32 v9, s[2:3], v8, v8, v7
	v_rcp_f32_e32 v10, v9
	v_div_scale_f32 v11, vcc, v7, v8, v7
	v_fma_f32 v12, -v9, v10, 1.0
	v_fmac_f32_e32 v10, v12, v10
	v_mul_f32_e32 v12, v11, v10
	v_fma_f32 v13, -v9, v12, v11
	v_fmac_f32_e32 v12, v13, v10
	v_fma_f32 v9, -v9, v12, v11
	v_div_fmas_f32 v9, v9, v10, v12
	v_div_fixup_f32 v7, v9, v8, v7
	v_fma_f32 v7, v7, v7, 1.0
	v_mul_f32_e32 v9, 0x4f800000, v7
	v_cmp_gt_f32_e32 vcc, s44, v7
	s_nop 1
	v_cndmask_b32_e32 v7, v7, v9, vcc
	v_sqrt_f32_e32 v9, v7
	s_nop 0
	v_add_u32_e32 v10, -1, v9
	v_fma_f32 v11, -v10, v9, v7
	v_cmp_ge_f32_e64 s[2:3], 0, v11
	v_add_u32_e32 v11, 1, v9
	s_nop 0
	v_cndmask_b32_e64 v10, v9, v10, s[2:3]
	v_fma_f32 v9, -v11, v9, v7
	v_cmp_lt_f32_e64 s[2:3], 0, v9
	s_nop 1
	v_cndmask_b32_e64 v9, v10, v11, s[2:3]
	v_mul_f32_e32 v10, 0x37800000, v9
	v_cndmask_b32_e32 v9, v9, v10, vcc
	v_cmp_class_f32_e32 vcc, v7, v18
	s_nop 1
	v_cndmask_b32_e32 v7, v9, v7, vcc
	v_mul_f32_e32 v9, v8, v7
.LBB36_38:                              ;   in Loop: Header=BB36_4 Depth=1
	s_or_b64 exec, exec, s[34:35]
                                        ; implicit-def: $vgpr7
                                        ; implicit-def: $vgpr8
.LBB36_39:                              ;   in Loop: Header=BB36_4 Depth=1
	s_andn2_saveexec_b64 s[30:31], s[30:31]
	s_cbranch_execz .LBB36_41
; %bb.40:                               ;   in Loop: Header=BB36_4 Depth=1
	v_div_scale_f32 v9, s[2:3], v7, v7, v8
	v_rcp_f32_e32 v10, v9
	v_div_scale_f32 v11, vcc, v8, v7, v8
	v_fma_f32 v12, -v9, v10, 1.0
	v_fmac_f32_e32 v10, v12, v10
	v_mul_f32_e32 v12, v11, v10
	v_fma_f32 v13, -v9, v12, v11
	v_fmac_f32_e32 v12, v13, v10
	v_fma_f32 v9, -v9, v12, v11
	v_div_fmas_f32 v9, v9, v10, v12
	v_div_fixup_f32 v8, v9, v7, v8
	v_fma_f32 v8, v8, v8, 1.0
	v_mul_f32_e32 v9, 0x4f800000, v8
	v_cmp_gt_f32_e32 vcc, s44, v8
	s_nop 1
	v_cndmask_b32_e32 v8, v8, v9, vcc
	v_sqrt_f32_e32 v9, v8
	s_nop 0
	v_add_u32_e32 v10, -1, v9
	v_fma_f32 v11, -v10, v9, v8
	v_cmp_ge_f32_e64 s[2:3], 0, v11
	v_add_u32_e32 v11, 1, v9
	s_nop 0
	v_cndmask_b32_e64 v10, v9, v10, s[2:3]
	v_fma_f32 v9, -v11, v9, v8
	v_cmp_lt_f32_e64 s[2:3], 0, v9
	s_nop 1
	v_cndmask_b32_e64 v9, v10, v11, s[2:3]
	v_mul_f32_e32 v10, 0x37800000, v9
	v_cndmask_b32_e32 v9, v9, v10, vcc
	v_cmp_class_f32_e32 vcc, v8, v18
	s_nop 1
	v_cndmask_b32_e32 v8, v9, v8, vcc
	v_mul_f32_e32 v9, v7, v8
.LBB36_41:                              ;   in Loop: Header=BB36_4 Depth=1
	s_or_b64 exec, exec, s[30:31]
	v_cmp_nlg_f32_e64 s[2:3], |v6|, s45
	v_cmp_gt_f32_e32 vcc, v1, v6
	v_cmp_class_f32_e64 s[34:35], v9, s46
	s_and_saveexec_b64 s[30:31], s[34:35]
	s_cbranch_execz .LBB36_2
; %bb.42:                               ;   in Loop: Header=BB36_4 Depth=1
	v_lshl_add_u64 v[8:9], v[2:3], 3, s[10:11]
	global_store_dwordx2 v[8:9], v[4:5], off
	s_branch .LBB36_2
.LBB36_43:
	s_or_b64 exec, exec, s[24:25]
	v_mov_b32_dpp v2, v1 row_shr:1 row_mask:0xf bank_mask:0xf
	v_cmp_lt_f32_e32 vcc, v1, v2
	v_and_b32_e32 v3, 31, v0
	s_nop 0
	v_cndmask_b32_e32 v1, v1, v2, vcc
	s_nop 1
	v_mov_b32_dpp v2, v1 row_shr:2 row_mask:0xf bank_mask:0xf
	v_cmp_lt_f32_e32 vcc, v1, v2
	s_nop 1
	v_cndmask_b32_e32 v1, v1, v2, vcc
	s_nop 1
	v_mov_b32_dpp v2, v1 row_shr:4 row_mask:0xf bank_mask:0xe
	v_cmp_lt_f32_e32 vcc, v1, v2
	s_nop 1
	v_cndmask_b32_e32 v1, v1, v2, vcc
	s_nop 1
	v_mov_b32_dpp v2, v1 row_shr:8 row_mask:0xf bank_mask:0xc
	v_cmp_lt_f32_e32 vcc, v1, v2
	s_nop 1
	v_cndmask_b32_e32 v1, v1, v2, vcc
	v_cmp_eq_u32_e32 vcc, 31, v3
	s_nop 0
	v_mov_b32_dpp v2, v1 row_bcast:15 row_mask:0xa bank_mask:0xf
	s_and_saveexec_b64 s[2:3], vcc
; %bb.44:
	v_lshrrev_b32_e32 v3, 3, v0
	v_cmp_lt_f32_e32 vcc, v1, v2
	v_and_b32_e32 v3, 0x7c, v3
	s_nop 0
	v_cndmask_b32_e32 v1, v1, v2, vcc
	ds_write_b32 v3, v1
; %bb.45:
	s_or_b64 exec, exec, s[2:3]
	v_cmp_gt_u32_e32 vcc, 16, v0
	v_lshlrev_b32_e32 v1, 2, v0
	s_waitcnt lgkmcnt(0)
	s_barrier
	s_and_saveexec_b64 s[2:3], vcc
	s_cbranch_execz .LBB36_47
; %bb.46:
	ds_read2_b32 v[2:3], v1 offset1:16
	s_waitcnt lgkmcnt(0)
	v_cmp_lt_f32_e32 vcc, v2, v3
	s_nop 1
	v_cndmask_b32_e32 v2, v2, v3, vcc
	ds_write_b32 v1, v2
.LBB36_47:
	s_or_b64 exec, exec, s[2:3]
	v_cmp_gt_u32_e32 vcc, 8, v0
	s_waitcnt lgkmcnt(0)
	s_barrier
	s_and_saveexec_b64 s[2:3], vcc
	s_cbranch_execz .LBB36_49
; %bb.48:
	ds_read2_b32 v[2:3], v1 offset1:8
	s_waitcnt lgkmcnt(0)
	v_cmp_lt_f32_e32 vcc, v2, v3
	s_nop 1
	v_cndmask_b32_e32 v2, v2, v3, vcc
	ds_write_b32 v1, v2
.LBB36_49:
	s_or_b64 exec, exec, s[2:3]
	v_cmp_gt_u32_e32 vcc, 4, v0
	;; [unrolled: 14-line block ×3, first 2 shown]
	s_waitcnt lgkmcnt(0)
	s_barrier
	s_and_saveexec_b64 s[2:3], vcc
	s_cbranch_execz .LBB36_53
; %bb.52:
	ds_read2_b32 v[2:3], v1 offset1:2
	s_waitcnt lgkmcnt(0)
	v_cmp_lt_f32_e32 vcc, v2, v3
	s_nop 1
	v_cndmask_b32_e32 v2, v2, v3, vcc
	ds_write_b32 v1, v2
.LBB36_53:
	s_or_b64 exec, exec, s[2:3]
	v_cmp_eq_u32_e32 vcc, 0, v0
	s_waitcnt lgkmcnt(0)
	s_barrier
	s_and_saveexec_b64 s[4:5], vcc
	s_cbranch_execz .LBB36_55
; %bb.54:
	v_mov_b32_e32 v2, 0
	ds_read_b64 v[0:1], v2
	s_waitcnt lgkmcnt(0)
	v_cmp_lt_f32_e64 s[2:3], v0, v1
	s_nop 1
	v_cndmask_b32_e64 v0, v0, v1, s[2:3]
	ds_write_b32 v2, v0
.LBB36_55:
	s_or_b64 exec, exec, s[4:5]
	s_waitcnt lgkmcnt(0)
	s_barrier
	s_and_saveexec_b64 s[2:3], vcc
	s_cbranch_execz .LBB36_59
; %bb.56:
	v_mbcnt_lo_u32_b32 v0, exec_lo, 0
	v_mbcnt_hi_u32_b32 v0, exec_hi, v0
	v_cmp_eq_u32_e32 vcc, 0, v0
	s_and_b64 exec, exec, vcc
	s_cbranch_execz .LBB36_59
; %bb.57:
	s_load_dwordx4 s[4:7], s[0:1], 0x68
	v_mov_b32_e32 v2, 0
	ds_read_b32 v0, v2
	s_mov_b64 s[0:1], 0
	s_waitcnt lgkmcnt(0)
	s_load_dword s6, s[6:7], 0x0
	s_waitcnt lgkmcnt(0)
	v_div_scale_f32 v1, s[2:3], s6, s6, v0
	v_rcp_f32_e32 v3, v1
	v_div_scale_f32 v4, vcc, v0, s6, v0
	s_load_dword s2, s[4:5], 0x0
	v_fma_f32 v5, -v1, v3, 1.0
	v_fmac_f32_e32 v3, v5, v3
	v_mul_f32_e32 v5, v4, v3
	v_fma_f32 v6, -v1, v5, v4
	v_fmac_f32_e32 v5, v6, v3
	v_fma_f32 v1, -v1, v5, v4
	v_div_fmas_f32 v1, v1, v3, v5
	v_div_fixup_f32 v0, v1, s6, v0
	s_waitcnt lgkmcnt(0)
	v_mov_b32_e32 v1, s2
	v_max_f32_e32 v3, v0, v0
.LBB36_58:                              ; =>This Inner Loop Header: Depth=1
	v_max_f32_e32 v0, v1, v1
	v_max_f32_e32 v0, v0, v3
	global_atomic_cmpswap v0, v2, v[0:1], s[4:5] sc0
	s_waitcnt vmcnt(0)
	v_cmp_eq_u32_e32 vcc, v0, v1
	s_or_b64 s[0:1], vcc, s[0:1]
	v_mov_b32_e32 v1, v0
	s_andn2_b64 exec, exec, s[0:1]
	s_cbranch_execnz .LBB36_58
.LBB36_59:
	s_endpgm
	.section	.rodata,"a",@progbits
	.p2align	6, 0x0
	.amdhsa_kernel _ZN9rocsparseL20kernel_calculate_cooILi1024ELi32ELb1E21rocsparse_complex_numIfEiiEEvT4_T3_PKS3_S6_PKT2_21rocsparse_index_base_PKS4_SC_S6_SC_SC_S6_SC_PS7_PNS_15floating_traitsIS7_E6data_tEPKSG_
		.amdhsa_group_segment_fixed_size 128
		.amdhsa_private_segment_fixed_size 0
		.amdhsa_kernarg_size 120
		.amdhsa_user_sgpr_count 2
		.amdhsa_user_sgpr_dispatch_ptr 0
		.amdhsa_user_sgpr_queue_ptr 0
		.amdhsa_user_sgpr_kernarg_segment_ptr 1
		.amdhsa_user_sgpr_dispatch_id 0
		.amdhsa_user_sgpr_kernarg_preload_length 0
		.amdhsa_user_sgpr_kernarg_preload_offset 0
		.amdhsa_user_sgpr_private_segment_size 0
		.amdhsa_uses_dynamic_stack 0
		.amdhsa_enable_private_segment 0
		.amdhsa_system_sgpr_workgroup_id_x 1
		.amdhsa_system_sgpr_workgroup_id_y 0
		.amdhsa_system_sgpr_workgroup_id_z 0
		.amdhsa_system_sgpr_workgroup_info 0
		.amdhsa_system_vgpr_workitem_id 0
		.amdhsa_next_free_vgpr 28
		.amdhsa_next_free_sgpr 50
		.amdhsa_accum_offset 28
		.amdhsa_reserve_vcc 1
		.amdhsa_float_round_mode_32 0
		.amdhsa_float_round_mode_16_64 0
		.amdhsa_float_denorm_mode_32 3
		.amdhsa_float_denorm_mode_16_64 3
		.amdhsa_dx10_clamp 1
		.amdhsa_ieee_mode 1
		.amdhsa_fp16_overflow 0
		.amdhsa_tg_split 0
		.amdhsa_exception_fp_ieee_invalid_op 0
		.amdhsa_exception_fp_denorm_src 0
		.amdhsa_exception_fp_ieee_div_zero 0
		.amdhsa_exception_fp_ieee_overflow 0
		.amdhsa_exception_fp_ieee_underflow 0
		.amdhsa_exception_fp_ieee_inexact 0
		.amdhsa_exception_int_div_zero 0
	.end_amdhsa_kernel
	.section	.text._ZN9rocsparseL20kernel_calculate_cooILi1024ELi32ELb1E21rocsparse_complex_numIfEiiEEvT4_T3_PKS3_S6_PKT2_21rocsparse_index_base_PKS4_SC_S6_SC_SC_S6_SC_PS7_PNS_15floating_traitsIS7_E6data_tEPKSG_,"axG",@progbits,_ZN9rocsparseL20kernel_calculate_cooILi1024ELi32ELb1E21rocsparse_complex_numIfEiiEEvT4_T3_PKS3_S6_PKT2_21rocsparse_index_base_PKS4_SC_S6_SC_SC_S6_SC_PS7_PNS_15floating_traitsIS7_E6data_tEPKSG_,comdat
.Lfunc_end36:
	.size	_ZN9rocsparseL20kernel_calculate_cooILi1024ELi32ELb1E21rocsparse_complex_numIfEiiEEvT4_T3_PKS3_S6_PKT2_21rocsparse_index_base_PKS4_SC_S6_SC_SC_S6_SC_PS7_PNS_15floating_traitsIS7_E6data_tEPKSG_, .Lfunc_end36-_ZN9rocsparseL20kernel_calculate_cooILi1024ELi32ELb1E21rocsparse_complex_numIfEiiEEvT4_T3_PKS3_S6_PKT2_21rocsparse_index_base_PKS4_SC_S6_SC_SC_S6_SC_PS7_PNS_15floating_traitsIS7_E6data_tEPKSG_
                                        ; -- End function
	.set _ZN9rocsparseL20kernel_calculate_cooILi1024ELi32ELb1E21rocsparse_complex_numIfEiiEEvT4_T3_PKS3_S6_PKT2_21rocsparse_index_base_PKS4_SC_S6_SC_SC_S6_SC_PS7_PNS_15floating_traitsIS7_E6data_tEPKSG_.num_vgpr, 28
	.set _ZN9rocsparseL20kernel_calculate_cooILi1024ELi32ELb1E21rocsparse_complex_numIfEiiEEvT4_T3_PKS3_S6_PKT2_21rocsparse_index_base_PKS4_SC_S6_SC_SC_S6_SC_PS7_PNS_15floating_traitsIS7_E6data_tEPKSG_.num_agpr, 0
	.set _ZN9rocsparseL20kernel_calculate_cooILi1024ELi32ELb1E21rocsparse_complex_numIfEiiEEvT4_T3_PKS3_S6_PKT2_21rocsparse_index_base_PKS4_SC_S6_SC_SC_S6_SC_PS7_PNS_15floating_traitsIS7_E6data_tEPKSG_.numbered_sgpr, 50
	.set _ZN9rocsparseL20kernel_calculate_cooILi1024ELi32ELb1E21rocsparse_complex_numIfEiiEEvT4_T3_PKS3_S6_PKT2_21rocsparse_index_base_PKS4_SC_S6_SC_SC_S6_SC_PS7_PNS_15floating_traitsIS7_E6data_tEPKSG_.num_named_barrier, 0
	.set _ZN9rocsparseL20kernel_calculate_cooILi1024ELi32ELb1E21rocsparse_complex_numIfEiiEEvT4_T3_PKS3_S6_PKT2_21rocsparse_index_base_PKS4_SC_S6_SC_SC_S6_SC_PS7_PNS_15floating_traitsIS7_E6data_tEPKSG_.private_seg_size, 0
	.set _ZN9rocsparseL20kernel_calculate_cooILi1024ELi32ELb1E21rocsparse_complex_numIfEiiEEvT4_T3_PKS3_S6_PKT2_21rocsparse_index_base_PKS4_SC_S6_SC_SC_S6_SC_PS7_PNS_15floating_traitsIS7_E6data_tEPKSG_.uses_vcc, 1
	.set _ZN9rocsparseL20kernel_calculate_cooILi1024ELi32ELb1E21rocsparse_complex_numIfEiiEEvT4_T3_PKS3_S6_PKT2_21rocsparse_index_base_PKS4_SC_S6_SC_SC_S6_SC_PS7_PNS_15floating_traitsIS7_E6data_tEPKSG_.uses_flat_scratch, 0
	.set _ZN9rocsparseL20kernel_calculate_cooILi1024ELi32ELb1E21rocsparse_complex_numIfEiiEEvT4_T3_PKS3_S6_PKT2_21rocsparse_index_base_PKS4_SC_S6_SC_SC_S6_SC_PS7_PNS_15floating_traitsIS7_E6data_tEPKSG_.has_dyn_sized_stack, 0
	.set _ZN9rocsparseL20kernel_calculate_cooILi1024ELi32ELb1E21rocsparse_complex_numIfEiiEEvT4_T3_PKS3_S6_PKT2_21rocsparse_index_base_PKS4_SC_S6_SC_SC_S6_SC_PS7_PNS_15floating_traitsIS7_E6data_tEPKSG_.has_recursion, 0
	.set _ZN9rocsparseL20kernel_calculate_cooILi1024ELi32ELb1E21rocsparse_complex_numIfEiiEEvT4_T3_PKS3_S6_PKT2_21rocsparse_index_base_PKS4_SC_S6_SC_SC_S6_SC_PS7_PNS_15floating_traitsIS7_E6data_tEPKSG_.has_indirect_call, 0
	.section	.AMDGPU.csdata,"",@progbits
; Kernel info:
; codeLenInByte = 2984
; TotalNumSgprs: 56
; NumVgprs: 28
; NumAgprs: 0
; TotalNumVgprs: 28
; ScratchSize: 0
; MemoryBound: 0
; FloatMode: 240
; IeeeMode: 1
; LDSByteSize: 128 bytes/workgroup (compile time only)
; SGPRBlocks: 6
; VGPRBlocks: 3
; NumSGPRsForWavesPerEU: 56
; NumVGPRsForWavesPerEU: 28
; AccumOffset: 28
; Occupancy: 8
; WaveLimiterHint : 1
; COMPUTE_PGM_RSRC2:SCRATCH_EN: 0
; COMPUTE_PGM_RSRC2:USER_SGPR: 2
; COMPUTE_PGM_RSRC2:TRAP_HANDLER: 0
; COMPUTE_PGM_RSRC2:TGID_X_EN: 1
; COMPUTE_PGM_RSRC2:TGID_Y_EN: 0
; COMPUTE_PGM_RSRC2:TGID_Z_EN: 0
; COMPUTE_PGM_RSRC2:TIDIG_COMP_CNT: 0
; COMPUTE_PGM_RSRC3_GFX90A:ACCUM_OFFSET: 6
; COMPUTE_PGM_RSRC3_GFX90A:TG_SPLIT: 0
	.section	.text._ZN9rocsparseL20kernel_calculate_cooILi1024ELi64ELb1E21rocsparse_complex_numIfEiiEEvT4_T3_PKS3_S6_PKT2_21rocsparse_index_base_PKS4_SC_S6_SC_SC_S6_SC_PS7_PNS_15floating_traitsIS7_E6data_tEPKSG_,"axG",@progbits,_ZN9rocsparseL20kernel_calculate_cooILi1024ELi64ELb1E21rocsparse_complex_numIfEiiEEvT4_T3_PKS3_S6_PKT2_21rocsparse_index_base_PKS4_SC_S6_SC_SC_S6_SC_PS7_PNS_15floating_traitsIS7_E6data_tEPKSG_,comdat
	.globl	_ZN9rocsparseL20kernel_calculate_cooILi1024ELi64ELb1E21rocsparse_complex_numIfEiiEEvT4_T3_PKS3_S6_PKT2_21rocsparse_index_base_PKS4_SC_S6_SC_SC_S6_SC_PS7_PNS_15floating_traitsIS7_E6data_tEPKSG_ ; -- Begin function _ZN9rocsparseL20kernel_calculate_cooILi1024ELi64ELb1E21rocsparse_complex_numIfEiiEEvT4_T3_PKS3_S6_PKT2_21rocsparse_index_base_PKS4_SC_S6_SC_SC_S6_SC_PS7_PNS_15floating_traitsIS7_E6data_tEPKSG_
	.p2align	8
	.type	_ZN9rocsparseL20kernel_calculate_cooILi1024ELi64ELb1E21rocsparse_complex_numIfEiiEEvT4_T3_PKS3_S6_PKT2_21rocsparse_index_base_PKS4_SC_S6_SC_SC_S6_SC_PS7_PNS_15floating_traitsIS7_E6data_tEPKSG_,@function
_ZN9rocsparseL20kernel_calculate_cooILi1024ELi64ELb1E21rocsparse_complex_numIfEiiEEvT4_T3_PKS3_S6_PKT2_21rocsparse_index_base_PKS4_SC_S6_SC_SC_S6_SC_PS7_PNS_15floating_traitsIS7_E6data_tEPKSG_: ; @_ZN9rocsparseL20kernel_calculate_cooILi1024ELi64ELb1E21rocsparse_complex_numIfEiiEEvT4_T3_PKS3_S6_PKT2_21rocsparse_index_base_PKS4_SC_S6_SC_SC_S6_SC_PS7_PNS_15floating_traitsIS7_E6data_tEPKSG_
; %bb.0:
	s_load_dword s33, s[0:1], 0x4
	v_lshl_or_b32 v2, s2, 16, v0
	v_mov_b32_e32 v1, 0
	s_waitcnt lgkmcnt(0)
	v_cmp_gt_i32_e32 vcc, s33, v2
	s_and_saveexec_b64 s[24:25], vcc
	s_cbranch_execz .LBB37_43
; %bb.1:
	s_load_dwordx8 s[4:11], s[0:1], 0x48
	s_load_dwordx4 s[20:23], s[0:1], 0x8
	s_load_dwordx2 s[26:27], s[0:1], 0x18
	s_load_dwordx8 s[12:19], s[0:1], 0x28
	s_load_dword s42, s[0:1], 0x20
	v_mov_b32_e32 v1, 0
	s_mov_b32 s43, 0
	s_mov_b32 s44, 0xf800000
	v_mov_b32_e32 v18, 0x260
	s_mov_b32 s45, 0x7f800000
	s_movk_i32 s46, 0x1f8
	s_branch .LBB37_4
.LBB37_2:                               ;   in Loop: Header=BB37_4 Depth=1
	s_or_b64 exec, exec, s[30:31]
	s_or_b64 vcc, s[2:3], vcc
	v_cndmask_b32_e32 v1, v6, v1, vcc
.LBB37_3:                               ;   in Loop: Header=BB37_4 Depth=1
	s_or_b64 exec, exec, s[28:29]
	s_add_i32 s43, s43, 1
	s_cmp_lg_u32 s43, 64
	v_add_u32_e32 v2, 0x400, v2
	s_cbranch_scc0 .LBB37_43
.LBB37_4:                               ; =>This Loop Header: Depth=1
                                        ;     Child Loop BB37_8 Depth 2
                                        ;     Child Loop BB37_16 Depth 2
	;; [unrolled: 1-line block ×3, first 2 shown]
	v_cmp_gt_i32_e32 vcc, s33, v2
	s_and_saveexec_b64 s[28:29], vcc
	s_cbranch_execz .LBB37_3
; %bb.5:                                ;   in Loop: Header=BB37_4 Depth=1
	v_ashrrev_i32_e32 v3, 31, v2
	v_lshlrev_b64 v[4:5], 2, v[2:3]
	s_waitcnt lgkmcnt(0)
	v_lshl_add_u64 v[6:7], s[22:23], 0, v[4:5]
	global_load_dword v19, v[6:7], off
	v_lshl_add_u64 v[4:5], s[20:21], 0, v[4:5]
	global_load_dword v20, v[4:5], off
	s_waitcnt vmcnt(1)
	v_subrev_u32_e32 v4, s42, v19
	v_ashrrev_i32_e32 v5, 31, v4
	v_lshlrev_b64 v[4:5], 2, v[4:5]
	v_lshl_add_u64 v[6:7], s[14:15], 0, v[4:5]
	global_load_dword v10, v[6:7], off
	s_waitcnt vmcnt(1)
	v_subrev_u32_e32 v6, s42, v20
	v_ashrrev_i32_e32 v7, 31, v6
	v_lshlrev_b64 v[6:7], 2, v[6:7]
	v_lshl_add_u64 v[8:9], s[14:15], 0, v[6:7]
	global_load_dword v11, v[8:9], off
	v_lshl_add_u64 v[8:9], s[4:5], 0, v[4:5]
	v_lshl_add_u64 v[4:5], s[18:19], 0, v[4:5]
	global_load_dword v15, v[4:5], off
	v_lshl_add_u64 v[4:5], v[2:3], 3, s[26:27]
	v_lshl_add_u64 v[6:7], s[12:13], 0, v[6:7]
	global_load_dwordx2 v[12:13], v[4:5], off
	global_load_dword v14, v[6:7], off
	s_waitcnt vmcnt(4)
	v_subrev_u32_e32 v4, s42, v10
	global_load_dword v9, v[8:9], off
	v_ashrrev_i32_e32 v5, 31, v4
	v_lshl_add_u64 v[4:5], v[4:5], 3, s[10:11]
	global_load_dwordx2 v[6:7], v[4:5], off
	s_waitcnt vmcnt(5)
	v_subrev_u32_e32 v21, s42, v11
	s_waitcnt vmcnt(4)
	v_subrev_u32_e32 v10, s42, v15
	s_waitcnt vmcnt(2)
	v_cmp_lt_i32_e32 vcc, v14, v11
	v_subrev_u32_e32 v8, s42, v14
	s_waitcnt vmcnt(1)
	v_cmp_lt_i32_e64 s[2:3], v15, v9
	v_mov_b32_e32 v15, 0
	v_subrev_u32_e32 v22, s42, v9
	s_and_b64 s[2:3], vcc, s[2:3]
	v_mov_b32_e32 v14, v15
	s_and_saveexec_b64 s[30:31], s[2:3]
	s_cbranch_execz .LBB37_11
; %bb.6:                                ;   in Loop: Header=BB37_4 Depth=1
	v_mov_b32_e32 v14, 0
	s_mov_b64 s[34:35], 0
	v_mov_b32_e32 v15, v14
	s_branch .LBB37_8
.LBB37_7:                               ;   in Loop: Header=BB37_8 Depth=2
	s_or_b64 exec, exec, s[2:3]
	v_cmp_le_i32_e32 vcc, v4, v5
	s_nop 1
	v_addc_co_u32_e32 v8, vcc, 0, v8, vcc
	v_cmp_ge_i32_e32 vcc, v4, v5
	s_nop 1
	v_addc_co_u32_e32 v10, vcc, 0, v10, vcc
	v_cmp_ge_i32_e32 vcc, v8, v21
	v_cmp_ge_i32_e64 s[2:3], v10, v22
	s_or_b64 s[2:3], vcc, s[2:3]
	s_and_b64 s[2:3], exec, s[2:3]
	s_or_b64 s[34:35], s[2:3], s[34:35]
	s_andn2_b64 exec, exec, s[34:35]
	s_cbranch_execz .LBB37_10
.LBB37_8:                               ;   Parent Loop BB37_4 Depth=1
                                        ; =>  This Inner Loop Header: Depth=2
	v_ashrrev_i32_e32 v9, 31, v8
	v_ashrrev_i32_e32 v11, 31, v10
	v_lshl_add_u64 v[4:5], v[8:9], 2, s[16:17]
	v_lshl_add_u64 v[16:17], v[10:11], 2, s[6:7]
	global_load_dword v4, v[4:5], off
	s_nop 0
	global_load_dword v5, v[16:17], off
	s_waitcnt vmcnt(0)
	v_cmp_eq_u32_e32 vcc, v4, v5
	s_and_saveexec_b64 s[2:3], vcc
	s_cbranch_execz .LBB37_7
; %bb.9:                                ;   in Loop: Header=BB37_8 Depth=2
	v_lshl_add_u64 v[16:17], v[10:11], 2, s[8:9]
	global_load_dword v16, v[16:17], off
	v_lshl_add_u64 v[24:25], v[8:9], 3, s[10:11]
	global_load_dwordx2 v[24:25], v[24:25], off
	s_waitcnt vmcnt(1)
	v_ashrrev_i32_e32 v17, 31, v16
	v_lshl_add_u64 v[16:17], v[16:17], 3, s[10:11]
	global_load_dwordx2 v[16:17], v[16:17], off
	s_waitcnt vmcnt(1)
	v_xor_b32_e32 v26, 0x80000000, v25
	v_mov_b32_e32 v27, v24
	s_waitcnt vmcnt(0)
	v_pk_fma_f32 v[14:15], v[24:25], v[16:17], v[14:15] op_sel_hi:[1,0,1]
	s_nop 0
	v_pk_fma_f32 v[14:15], v[26:27], v[16:17], v[14:15] op_sel:[0,1,0]
	s_branch .LBB37_7
.LBB37_10:                              ;   in Loop: Header=BB37_4 Depth=1
	s_or_b64 exec, exec, s[34:35]
.LBB37_11:                              ;   in Loop: Header=BB37_4 Depth=1
	s_or_b64 exec, exec, s[30:31]
	v_pk_add_f32 v[4:5], v[12:13], v[14:15] neg_lo:[0,1] neg_hi:[0,1]
	v_cmp_gt_i32_e32 vcc, v20, v19
	s_and_saveexec_b64 s[2:3], vcc
	s_cbranch_execz .LBB37_13
; %bb.12:                               ;   in Loop: Header=BB37_4 Depth=1
	s_waitcnt vmcnt(0)
	v_mul_f32_e32 v9, v7, v7
	v_fmac_f32_e32 v9, v6, v6
	v_div_scale_f32 v11, s[30:31], v9, v9, 1.0
	v_rcp_f32_e32 v16, v11
	v_div_scale_f32 v17, vcc, 1.0, v9, 1.0
	v_xor_b32_e32 v25, 0x80000000, v4
	v_fma_f32 v23, -v11, v16, 1.0
	v_fmac_f32_e32 v16, v23, v16
	v_mul_f32_e32 v23, v17, v16
	v_fma_f32 v24, -v11, v23, v17
	v_fmac_f32_e32 v23, v24, v16
	v_fma_f32 v11, -v11, v23, v17
	v_mov_b32_e32 v26, v7
	v_mov_b32_e32 v24, v5
	v_div_fmas_f32 v11, v11, v16, v23
	v_pk_mul_f32 v[24:25], v[26:27], v[24:25] op_sel_hi:[0,1]
	v_div_fixup_f32 v16, v11, v9, 1.0
	v_pk_fma_f32 v[4:5], v[4:5], v[6:7], v[24:25] op_sel_hi:[1,0,1]
	s_nop 0
	v_pk_mul_f32 v[4:5], v[16:17], v[4:5] op_sel_hi:[0,1]
.LBB37_13:                              ;   in Loop: Header=BB37_4 Depth=1
	s_or_b64 exec, exec, s[2:3]
	v_pk_add_f32 v[12:13], v[14:15], v[12:13] neg_lo:[0,1] neg_hi:[0,1]
	v_cmp_lt_i32_e32 vcc, v10, v22
	s_and_saveexec_b64 s[2:3], vcc
	s_cbranch_execz .LBB37_21
; %bb.14:                               ;   in Loop: Header=BB37_4 Depth=1
	v_ashrrev_i32_e32 v11, 31, v10
	v_lshl_add_u64 v[14:15], v[10:11], 2, s[6:7]
	s_mov_b64 s[30:31], 0
                                        ; implicit-def: $sgpr34_sgpr35
                                        ; implicit-def: $sgpr38_sgpr39
                                        ; implicit-def: $sgpr36_sgpr37
	s_branch .LBB37_16
.LBB37_15:                              ;   in Loop: Header=BB37_16 Depth=2
	s_or_b64 exec, exec, s[40:41]
	s_and_b64 s[40:41], exec, s[38:39]
	s_or_b64 s[30:31], s[40:41], s[30:31]
	s_andn2_b64 s[34:35], s[34:35], exec
	s_and_b64 s[40:41], s[36:37], exec
	s_or_b64 s[34:35], s[34:35], s[40:41]
	s_andn2_b64 exec, exec, s[30:31]
	s_cbranch_execz .LBB37_18
.LBB37_16:                              ;   Parent Loop BB37_4 Depth=1
                                        ; =>  This Inner Loop Header: Depth=2
	global_load_dword v9, v[14:15], off
	v_mov_b64_e32 v[16:17], v[10:11]
	s_or_b64 s[36:37], s[36:37], exec
	s_or_b64 s[38:39], s[38:39], exec
                                        ; implicit-def: $vgpr10_vgpr11
	s_waitcnt vmcnt(0)
	v_cmp_ne_u32_e32 vcc, v9, v20
	s_and_saveexec_b64 s[40:41], vcc
	s_cbranch_execz .LBB37_15
; %bb.17:                               ;   in Loop: Header=BB37_16 Depth=2
	v_lshl_add_u64 v[10:11], v[16:17], 0, 1
	v_cmp_ge_i32_e32 vcc, v10, v22
	s_andn2_b64 s[38:39], s[38:39], exec
	s_and_b64 s[48:49], vcc, exec
	v_lshl_add_u64 v[14:15], v[14:15], 0, 4
	s_andn2_b64 s[36:37], s[36:37], exec
	s_or_b64 s[38:39], s[38:39], s[48:49]
	s_branch .LBB37_15
.LBB37_18:                              ;   in Loop: Header=BB37_4 Depth=1
	s_or_b64 exec, exec, s[30:31]
	s_and_saveexec_b64 s[30:31], s[34:35]
	s_xor_b64 s[30:31], exec, s[30:31]
	s_cbranch_execz .LBB37_20
; %bb.19:                               ;   in Loop: Header=BB37_4 Depth=1
	v_lshl_add_u64 v[10:11], v[16:17], 2, s[8:9]
	global_load_dword v10, v[10:11], off
	s_waitcnt vmcnt(0)
	v_ashrrev_i32_e32 v11, 31, v10
	v_lshl_add_u64 v[10:11], v[10:11], 3, s[10:11]
	global_load_dwordx2 v[10:11], v[10:11], off
	s_waitcnt vmcnt(0)
	v_pk_add_f32 v[12:13], v[12:13], v[10:11]
.LBB37_20:                              ;   in Loop: Header=BB37_4 Depth=1
	s_or_b64 exec, exec, s[30:31]
.LBB37_21:                              ;   in Loop: Header=BB37_4 Depth=1
	s_or_b64 exec, exec, s[2:3]
	v_cmp_lt_i32_e32 vcc, v8, v21
	s_and_saveexec_b64 s[2:3], vcc
	s_cbranch_execz .LBB37_29
; %bb.22:                               ;   in Loop: Header=BB37_4 Depth=1
	v_ashrrev_i32_e32 v9, 31, v8
	v_lshl_add_u64 v[10:11], v[8:9], 2, s[16:17]
	s_mov_b64 s[30:31], 0
                                        ; implicit-def: $sgpr34_sgpr35
                                        ; implicit-def: $sgpr38_sgpr39
                                        ; implicit-def: $sgpr36_sgpr37
	s_branch .LBB37_24
.LBB37_23:                              ;   in Loop: Header=BB37_24 Depth=2
	s_or_b64 exec, exec, s[40:41]
	s_and_b64 s[40:41], exec, s[38:39]
	s_or_b64 s[30:31], s[40:41], s[30:31]
	s_andn2_b64 s[34:35], s[34:35], exec
	s_and_b64 s[40:41], s[36:37], exec
	s_or_b64 s[34:35], s[34:35], s[40:41]
	s_andn2_b64 exec, exec, s[30:31]
	s_cbranch_execz .LBB37_26
.LBB37_24:                              ;   Parent Loop BB37_4 Depth=1
                                        ; =>  This Inner Loop Header: Depth=2
	global_load_dword v16, v[10:11], off
	v_mov_b64_e32 v[14:15], v[8:9]
	s_or_b64 s[36:37], s[36:37], exec
	s_or_b64 s[38:39], s[38:39], exec
                                        ; implicit-def: $vgpr8_vgpr9
	s_waitcnt vmcnt(0)
	v_cmp_ne_u32_e32 vcc, v16, v19
	s_and_saveexec_b64 s[40:41], vcc
	s_cbranch_execz .LBB37_23
; %bb.25:                               ;   in Loop: Header=BB37_24 Depth=2
	v_lshl_add_u64 v[8:9], v[14:15], 0, 1
	v_cmp_ge_i32_e32 vcc, v8, v21
	s_andn2_b64 s[38:39], s[38:39], exec
	s_and_b64 s[48:49], vcc, exec
	v_lshl_add_u64 v[10:11], v[10:11], 0, 4
	s_andn2_b64 s[36:37], s[36:37], exec
	s_or_b64 s[38:39], s[38:39], s[48:49]
	s_branch .LBB37_23
.LBB37_26:                              ;   in Loop: Header=BB37_4 Depth=1
	s_or_b64 exec, exec, s[30:31]
	s_and_saveexec_b64 s[30:31], s[34:35]
	s_xor_b64 s[30:31], exec, s[30:31]
	s_cbranch_execz .LBB37_28
; %bb.27:                               ;   in Loop: Header=BB37_4 Depth=1
	v_lshl_add_u64 v[8:9], v[14:15], 3, s[10:11]
	global_load_dwordx2 v[8:9], v[8:9], off
	s_waitcnt vmcnt(0)
	v_xor_b32_e32 v10, 0x80000000, v9
	v_pk_fma_f32 v[12:13], v[8:9], v[6:7], v[12:13] op_sel_hi:[1,0,1]
	v_mov_b32_e32 v11, v8
	v_mov_b32_e32 v8, v7
	v_pk_fma_f32 v[12:13], v[10:11], v[8:9], v[12:13] op_sel_hi:[1,0,1]
.LBB37_28:                              ;   in Loop: Header=BB37_4 Depth=1
	s_or_b64 exec, exec, s[30:31]
.LBB37_29:                              ;   in Loop: Header=BB37_4 Depth=1
	s_or_b64 exec, exec, s[2:3]
	s_waitcnt vmcnt(0)
	v_add_f32_e32 v6, v6, v12
	v_cmp_eq_u32_e32 vcc, v20, v19
	v_add_f32_e32 v7, v7, v13
	s_nop 0
	v_cndmask_b32_e32 v6, v12, v6, vcc
	v_cndmask_b32_e32 v9, v13, v7, vcc
	v_cmp_gt_f32_e32 vcc, 0, v6
	s_nop 1
	v_cndmask_b32_e64 v7, v6, -v6, vcc
	v_cmp_gt_f32_e32 vcc, 0, v9
                                        ; implicit-def: $vgpr6
	s_nop 1
	v_cndmask_b32_e64 v8, v9, -v9, vcc
	v_cmp_ngt_f32_e32 vcc, v7, v8
	s_and_saveexec_b64 s[2:3], vcc
	s_xor_b64 s[30:31], exec, s[2:3]
	s_cbranch_execz .LBB37_33
; %bb.30:                               ;   in Loop: Header=BB37_4 Depth=1
	v_mov_b32_e32 v6, 0
	v_cmp_neq_f32_e32 vcc, 0, v9
	s_and_saveexec_b64 s[34:35], vcc
	s_cbranch_execz .LBB37_32
; %bb.31:                               ;   in Loop: Header=BB37_4 Depth=1
	v_div_scale_f32 v6, s[2:3], v8, v8, v7
	v_rcp_f32_e32 v9, v6
	v_div_scale_f32 v10, vcc, v7, v8, v7
	v_fma_f32 v11, -v6, v9, 1.0
	v_fmac_f32_e32 v9, v11, v9
	v_mul_f32_e32 v11, v10, v9
	v_fma_f32 v12, -v6, v11, v10
	v_fmac_f32_e32 v11, v12, v9
	v_fma_f32 v6, -v6, v11, v10
	v_div_fmas_f32 v6, v6, v9, v11
	v_div_fixup_f32 v6, v6, v8, v7
	v_fma_f32 v6, v6, v6, 1.0
	v_mul_f32_e32 v7, 0x4f800000, v6
	v_cmp_gt_f32_e32 vcc, s44, v6
	s_nop 1
	v_cndmask_b32_e32 v6, v6, v7, vcc
	v_sqrt_f32_e32 v7, v6
	s_nop 0
	v_add_u32_e32 v9, -1, v7
	v_fma_f32 v10, -v9, v7, v6
	v_cmp_ge_f32_e64 s[2:3], 0, v10
	v_add_u32_e32 v10, 1, v7
	s_nop 0
	v_cndmask_b32_e64 v9, v7, v9, s[2:3]
	v_fma_f32 v7, -v10, v7, v6
	v_cmp_lt_f32_e64 s[2:3], 0, v7
	s_nop 1
	v_cndmask_b32_e64 v7, v9, v10, s[2:3]
	v_mul_f32_e32 v9, 0x37800000, v7
	v_cndmask_b32_e32 v7, v7, v9, vcc
	v_cmp_class_f32_e32 vcc, v6, v18
	s_nop 1
	v_cndmask_b32_e32 v6, v7, v6, vcc
	v_mul_f32_e32 v6, v8, v6
.LBB37_32:                              ;   in Loop: Header=BB37_4 Depth=1
	s_or_b64 exec, exec, s[34:35]
                                        ; implicit-def: $vgpr7
                                        ; implicit-def: $vgpr8
.LBB37_33:                              ;   in Loop: Header=BB37_4 Depth=1
	s_andn2_saveexec_b64 s[30:31], s[30:31]
	s_cbranch_execz .LBB37_35
; %bb.34:                               ;   in Loop: Header=BB37_4 Depth=1
	v_div_scale_f32 v6, s[2:3], v7, v7, v8
	v_rcp_f32_e32 v9, v6
	v_div_scale_f32 v10, vcc, v8, v7, v8
	v_fma_f32 v11, -v6, v9, 1.0
	v_fmac_f32_e32 v9, v11, v9
	v_mul_f32_e32 v11, v10, v9
	v_fma_f32 v12, -v6, v11, v10
	v_fmac_f32_e32 v11, v12, v9
	v_fma_f32 v6, -v6, v11, v10
	v_div_fmas_f32 v6, v6, v9, v11
	v_div_fixup_f32 v6, v6, v7, v8
	v_fma_f32 v6, v6, v6, 1.0
	v_mul_f32_e32 v8, 0x4f800000, v6
	v_cmp_gt_f32_e32 vcc, s44, v6
	s_nop 1
	v_cndmask_b32_e32 v6, v6, v8, vcc
	v_sqrt_f32_e32 v8, v6
	s_nop 0
	v_add_u32_e32 v9, -1, v8
	v_fma_f32 v10, -v9, v8, v6
	v_cmp_ge_f32_e64 s[2:3], 0, v10
	v_add_u32_e32 v10, 1, v8
	s_nop 0
	v_cndmask_b32_e64 v9, v8, v9, s[2:3]
	v_fma_f32 v8, -v10, v8, v6
	v_cmp_lt_f32_e64 s[2:3], 0, v8
	s_nop 1
	v_cndmask_b32_e64 v8, v9, v10, s[2:3]
	v_mul_f32_e32 v9, 0x37800000, v8
	v_cndmask_b32_e32 v8, v8, v9, vcc
	v_cmp_class_f32_e32 vcc, v6, v18
	s_nop 1
	v_cndmask_b32_e32 v6, v8, v6, vcc
	v_mul_f32_e32 v6, v7, v6
.LBB37_35:                              ;   in Loop: Header=BB37_4 Depth=1
	s_or_b64 exec, exec, s[30:31]
	v_cmp_gt_f32_e32 vcc, 0, v4
                                        ; implicit-def: $vgpr9
	s_nop 1
	v_cndmask_b32_e64 v7, v4, -v4, vcc
	v_cmp_gt_f32_e32 vcc, 0, v5
	s_nop 1
	v_cndmask_b32_e64 v8, v5, -v5, vcc
	v_cmp_ngt_f32_e32 vcc, v7, v8
	s_and_saveexec_b64 s[2:3], vcc
	s_xor_b64 s[30:31], exec, s[2:3]
	s_cbranch_execz .LBB37_39
; %bb.36:                               ;   in Loop: Header=BB37_4 Depth=1
	v_mov_b32_e32 v9, 0
	v_cmp_neq_f32_e32 vcc, 0, v5
	s_and_saveexec_b64 s[34:35], vcc
	s_cbranch_execz .LBB37_38
; %bb.37:                               ;   in Loop: Header=BB37_4 Depth=1
	v_div_scale_f32 v9, s[2:3], v8, v8, v7
	v_rcp_f32_e32 v10, v9
	v_div_scale_f32 v11, vcc, v7, v8, v7
	v_fma_f32 v12, -v9, v10, 1.0
	v_fmac_f32_e32 v10, v12, v10
	v_mul_f32_e32 v12, v11, v10
	v_fma_f32 v13, -v9, v12, v11
	v_fmac_f32_e32 v12, v13, v10
	v_fma_f32 v9, -v9, v12, v11
	v_div_fmas_f32 v9, v9, v10, v12
	v_div_fixup_f32 v7, v9, v8, v7
	v_fma_f32 v7, v7, v7, 1.0
	v_mul_f32_e32 v9, 0x4f800000, v7
	v_cmp_gt_f32_e32 vcc, s44, v7
	s_nop 1
	v_cndmask_b32_e32 v7, v7, v9, vcc
	v_sqrt_f32_e32 v9, v7
	s_nop 0
	v_add_u32_e32 v10, -1, v9
	v_fma_f32 v11, -v10, v9, v7
	v_cmp_ge_f32_e64 s[2:3], 0, v11
	v_add_u32_e32 v11, 1, v9
	s_nop 0
	v_cndmask_b32_e64 v10, v9, v10, s[2:3]
	v_fma_f32 v9, -v11, v9, v7
	v_cmp_lt_f32_e64 s[2:3], 0, v9
	s_nop 1
	v_cndmask_b32_e64 v9, v10, v11, s[2:3]
	v_mul_f32_e32 v10, 0x37800000, v9
	v_cndmask_b32_e32 v9, v9, v10, vcc
	v_cmp_class_f32_e32 vcc, v7, v18
	s_nop 1
	v_cndmask_b32_e32 v7, v9, v7, vcc
	v_mul_f32_e32 v9, v8, v7
.LBB37_38:                              ;   in Loop: Header=BB37_4 Depth=1
	s_or_b64 exec, exec, s[34:35]
                                        ; implicit-def: $vgpr7
                                        ; implicit-def: $vgpr8
.LBB37_39:                              ;   in Loop: Header=BB37_4 Depth=1
	s_andn2_saveexec_b64 s[30:31], s[30:31]
	s_cbranch_execz .LBB37_41
; %bb.40:                               ;   in Loop: Header=BB37_4 Depth=1
	v_div_scale_f32 v9, s[2:3], v7, v7, v8
	v_rcp_f32_e32 v10, v9
	v_div_scale_f32 v11, vcc, v8, v7, v8
	v_fma_f32 v12, -v9, v10, 1.0
	v_fmac_f32_e32 v10, v12, v10
	v_mul_f32_e32 v12, v11, v10
	v_fma_f32 v13, -v9, v12, v11
	v_fmac_f32_e32 v12, v13, v10
	v_fma_f32 v9, -v9, v12, v11
	v_div_fmas_f32 v9, v9, v10, v12
	v_div_fixup_f32 v8, v9, v7, v8
	v_fma_f32 v8, v8, v8, 1.0
	v_mul_f32_e32 v9, 0x4f800000, v8
	v_cmp_gt_f32_e32 vcc, s44, v8
	s_nop 1
	v_cndmask_b32_e32 v8, v8, v9, vcc
	v_sqrt_f32_e32 v9, v8
	s_nop 0
	v_add_u32_e32 v10, -1, v9
	v_fma_f32 v11, -v10, v9, v8
	v_cmp_ge_f32_e64 s[2:3], 0, v11
	v_add_u32_e32 v11, 1, v9
	s_nop 0
	v_cndmask_b32_e64 v10, v9, v10, s[2:3]
	v_fma_f32 v9, -v11, v9, v8
	v_cmp_lt_f32_e64 s[2:3], 0, v9
	s_nop 1
	v_cndmask_b32_e64 v9, v10, v11, s[2:3]
	v_mul_f32_e32 v10, 0x37800000, v9
	v_cndmask_b32_e32 v9, v9, v10, vcc
	v_cmp_class_f32_e32 vcc, v8, v18
	s_nop 1
	v_cndmask_b32_e32 v8, v9, v8, vcc
	v_mul_f32_e32 v9, v7, v8
.LBB37_41:                              ;   in Loop: Header=BB37_4 Depth=1
	s_or_b64 exec, exec, s[30:31]
	v_cmp_nlg_f32_e64 s[2:3], |v6|, s45
	v_cmp_gt_f32_e32 vcc, v1, v6
	v_cmp_class_f32_e64 s[34:35], v9, s46
	s_and_saveexec_b64 s[30:31], s[34:35]
	s_cbranch_execz .LBB37_2
; %bb.42:                               ;   in Loop: Header=BB37_4 Depth=1
	v_lshl_add_u64 v[8:9], v[2:3], 3, s[10:11]
	global_store_dwordx2 v[8:9], v[4:5], off
	s_branch .LBB37_2
.LBB37_43:
	s_or_b64 exec, exec, s[24:25]
	v_mov_b32_dpp v2, v1 row_shr:1 row_mask:0xf bank_mask:0xf
	v_cmp_lt_f32_e32 vcc, v1, v2
	v_and_b32_e32 v3, 63, v0
	s_nop 0
	v_cndmask_b32_e32 v1, v1, v2, vcc
	s_nop 1
	v_mov_b32_dpp v2, v1 row_shr:2 row_mask:0xf bank_mask:0xf
	v_cmp_lt_f32_e32 vcc, v1, v2
	s_nop 1
	v_cndmask_b32_e32 v1, v1, v2, vcc
	s_nop 1
	v_mov_b32_dpp v2, v1 row_shr:4 row_mask:0xf bank_mask:0xe
	v_cmp_lt_f32_e32 vcc, v1, v2
	;; [unrolled: 5-line block ×3, first 2 shown]
	s_nop 1
	v_cndmask_b32_e32 v1, v1, v2, vcc
	s_nop 1
	v_mov_b32_dpp v2, v1 row_bcast:15 row_mask:0xa bank_mask:0xf
	v_cmp_lt_f32_e32 vcc, v1, v2
	s_nop 1
	v_cndmask_b32_e32 v1, v1, v2, vcc
	v_cmp_eq_u32_e32 vcc, 63, v3
	s_nop 0
	v_mov_b32_dpp v2, v1 row_bcast:31 row_mask:0xc bank_mask:0xf
	s_and_saveexec_b64 s[2:3], vcc
; %bb.44:
	v_lshrrev_b32_e32 v3, 4, v0
	v_cmp_lt_f32_e32 vcc, v1, v2
	v_and_b32_e32 v3, 60, v3
	s_nop 0
	v_cndmask_b32_e32 v1, v1, v2, vcc
	ds_write_b32 v3, v1
; %bb.45:
	s_or_b64 exec, exec, s[2:3]
	v_cmp_gt_u32_e32 vcc, 8, v0
	v_lshlrev_b32_e32 v1, 2, v0
	s_waitcnt lgkmcnt(0)
	s_barrier
	s_and_saveexec_b64 s[2:3], vcc
	s_cbranch_execz .LBB37_47
; %bb.46:
	ds_read2_b32 v[2:3], v1 offset1:8
	s_waitcnt lgkmcnt(0)
	v_cmp_lt_f32_e32 vcc, v2, v3
	s_nop 1
	v_cndmask_b32_e32 v2, v2, v3, vcc
	ds_write_b32 v1, v2
.LBB37_47:
	s_or_b64 exec, exec, s[2:3]
	v_cmp_gt_u32_e32 vcc, 4, v0
	s_waitcnt lgkmcnt(0)
	s_barrier
	s_and_saveexec_b64 s[2:3], vcc
	s_cbranch_execz .LBB37_49
; %bb.48:
	ds_read2_b32 v[2:3], v1 offset1:4
	s_waitcnt lgkmcnt(0)
	v_cmp_lt_f32_e32 vcc, v2, v3
	s_nop 1
	v_cndmask_b32_e32 v2, v2, v3, vcc
	ds_write_b32 v1, v2
.LBB37_49:
	s_or_b64 exec, exec, s[2:3]
	v_cmp_gt_u32_e32 vcc, 2, v0
	s_waitcnt lgkmcnt(0)
	s_barrier
	s_and_saveexec_b64 s[2:3], vcc
	s_cbranch_execz .LBB37_51
; %bb.50:
	ds_read2_b32 v[2:3], v1 offset1:2
	s_waitcnt lgkmcnt(0)
	v_cmp_lt_f32_e32 vcc, v2, v3
	s_nop 1
	v_cndmask_b32_e32 v2, v2, v3, vcc
	ds_write_b32 v1, v2
.LBB37_51:
	s_or_b64 exec, exec, s[2:3]
	v_cmp_eq_u32_e32 vcc, 0, v0
	s_waitcnt lgkmcnt(0)
	s_barrier
	s_and_saveexec_b64 s[4:5], vcc
	s_cbranch_execz .LBB37_53
; %bb.52:
	v_mov_b32_e32 v2, 0
	ds_read_b64 v[0:1], v2
	s_waitcnt lgkmcnt(0)
	v_cmp_lt_f32_e64 s[2:3], v0, v1
	s_nop 1
	v_cndmask_b32_e64 v0, v0, v1, s[2:3]
	ds_write_b32 v2, v0
.LBB37_53:
	s_or_b64 exec, exec, s[4:5]
	s_waitcnt lgkmcnt(0)
	s_barrier
	s_and_saveexec_b64 s[2:3], vcc
	s_cbranch_execz .LBB37_57
; %bb.54:
	v_mbcnt_lo_u32_b32 v0, exec_lo, 0
	v_mbcnt_hi_u32_b32 v0, exec_hi, v0
	v_cmp_eq_u32_e32 vcc, 0, v0
	s_and_b64 exec, exec, vcc
	s_cbranch_execz .LBB37_57
; %bb.55:
	s_load_dwordx4 s[4:7], s[0:1], 0x68
	v_mov_b32_e32 v2, 0
	ds_read_b32 v0, v2
	s_mov_b64 s[0:1], 0
	s_waitcnt lgkmcnt(0)
	s_load_dword s6, s[6:7], 0x0
	s_waitcnt lgkmcnt(0)
	v_div_scale_f32 v1, s[2:3], s6, s6, v0
	v_rcp_f32_e32 v3, v1
	v_div_scale_f32 v4, vcc, v0, s6, v0
	s_load_dword s2, s[4:5], 0x0
	v_fma_f32 v5, -v1, v3, 1.0
	v_fmac_f32_e32 v3, v5, v3
	v_mul_f32_e32 v5, v4, v3
	v_fma_f32 v6, -v1, v5, v4
	v_fmac_f32_e32 v5, v6, v3
	v_fma_f32 v1, -v1, v5, v4
	v_div_fmas_f32 v1, v1, v3, v5
	v_div_fixup_f32 v0, v1, s6, v0
	s_waitcnt lgkmcnt(0)
	v_mov_b32_e32 v1, s2
	v_max_f32_e32 v3, v0, v0
.LBB37_56:                              ; =>This Inner Loop Header: Depth=1
	v_max_f32_e32 v0, v1, v1
	v_max_f32_e32 v0, v0, v3
	global_atomic_cmpswap v0, v2, v[0:1], s[4:5] sc0
	s_waitcnt vmcnt(0)
	v_cmp_eq_u32_e32 vcc, v0, v1
	s_or_b64 s[0:1], vcc, s[0:1]
	v_mov_b32_e32 v1, v0
	s_andn2_b64 exec, exec, s[0:1]
	s_cbranch_execnz .LBB37_56
.LBB37_57:
	s_endpgm
	.section	.rodata,"a",@progbits
	.p2align	6, 0x0
	.amdhsa_kernel _ZN9rocsparseL20kernel_calculate_cooILi1024ELi64ELb1E21rocsparse_complex_numIfEiiEEvT4_T3_PKS3_S6_PKT2_21rocsparse_index_base_PKS4_SC_S6_SC_SC_S6_SC_PS7_PNS_15floating_traitsIS7_E6data_tEPKSG_
		.amdhsa_group_segment_fixed_size 64
		.amdhsa_private_segment_fixed_size 0
		.amdhsa_kernarg_size 120
		.amdhsa_user_sgpr_count 2
		.amdhsa_user_sgpr_dispatch_ptr 0
		.amdhsa_user_sgpr_queue_ptr 0
		.amdhsa_user_sgpr_kernarg_segment_ptr 1
		.amdhsa_user_sgpr_dispatch_id 0
		.amdhsa_user_sgpr_kernarg_preload_length 0
		.amdhsa_user_sgpr_kernarg_preload_offset 0
		.amdhsa_user_sgpr_private_segment_size 0
		.amdhsa_uses_dynamic_stack 0
		.amdhsa_enable_private_segment 0
		.amdhsa_system_sgpr_workgroup_id_x 1
		.amdhsa_system_sgpr_workgroup_id_y 0
		.amdhsa_system_sgpr_workgroup_id_z 0
		.amdhsa_system_sgpr_workgroup_info 0
		.amdhsa_system_vgpr_workitem_id 0
		.amdhsa_next_free_vgpr 28
		.amdhsa_next_free_sgpr 50
		.amdhsa_accum_offset 28
		.amdhsa_reserve_vcc 1
		.amdhsa_float_round_mode_32 0
		.amdhsa_float_round_mode_16_64 0
		.amdhsa_float_denorm_mode_32 3
		.amdhsa_float_denorm_mode_16_64 3
		.amdhsa_dx10_clamp 1
		.amdhsa_ieee_mode 1
		.amdhsa_fp16_overflow 0
		.amdhsa_tg_split 0
		.amdhsa_exception_fp_ieee_invalid_op 0
		.amdhsa_exception_fp_denorm_src 0
		.amdhsa_exception_fp_ieee_div_zero 0
		.amdhsa_exception_fp_ieee_overflow 0
		.amdhsa_exception_fp_ieee_underflow 0
		.amdhsa_exception_fp_ieee_inexact 0
		.amdhsa_exception_int_div_zero 0
	.end_amdhsa_kernel
	.section	.text._ZN9rocsparseL20kernel_calculate_cooILi1024ELi64ELb1E21rocsparse_complex_numIfEiiEEvT4_T3_PKS3_S6_PKT2_21rocsparse_index_base_PKS4_SC_S6_SC_SC_S6_SC_PS7_PNS_15floating_traitsIS7_E6data_tEPKSG_,"axG",@progbits,_ZN9rocsparseL20kernel_calculate_cooILi1024ELi64ELb1E21rocsparse_complex_numIfEiiEEvT4_T3_PKS3_S6_PKT2_21rocsparse_index_base_PKS4_SC_S6_SC_SC_S6_SC_PS7_PNS_15floating_traitsIS7_E6data_tEPKSG_,comdat
.Lfunc_end37:
	.size	_ZN9rocsparseL20kernel_calculate_cooILi1024ELi64ELb1E21rocsparse_complex_numIfEiiEEvT4_T3_PKS3_S6_PKT2_21rocsparse_index_base_PKS4_SC_S6_SC_SC_S6_SC_PS7_PNS_15floating_traitsIS7_E6data_tEPKSG_, .Lfunc_end37-_ZN9rocsparseL20kernel_calculate_cooILi1024ELi64ELb1E21rocsparse_complex_numIfEiiEEvT4_T3_PKS3_S6_PKT2_21rocsparse_index_base_PKS4_SC_S6_SC_SC_S6_SC_PS7_PNS_15floating_traitsIS7_E6data_tEPKSG_
                                        ; -- End function
	.set _ZN9rocsparseL20kernel_calculate_cooILi1024ELi64ELb1E21rocsparse_complex_numIfEiiEEvT4_T3_PKS3_S6_PKT2_21rocsparse_index_base_PKS4_SC_S6_SC_SC_S6_SC_PS7_PNS_15floating_traitsIS7_E6data_tEPKSG_.num_vgpr, 28
	.set _ZN9rocsparseL20kernel_calculate_cooILi1024ELi64ELb1E21rocsparse_complex_numIfEiiEEvT4_T3_PKS3_S6_PKT2_21rocsparse_index_base_PKS4_SC_S6_SC_SC_S6_SC_PS7_PNS_15floating_traitsIS7_E6data_tEPKSG_.num_agpr, 0
	.set _ZN9rocsparseL20kernel_calculate_cooILi1024ELi64ELb1E21rocsparse_complex_numIfEiiEEvT4_T3_PKS3_S6_PKT2_21rocsparse_index_base_PKS4_SC_S6_SC_SC_S6_SC_PS7_PNS_15floating_traitsIS7_E6data_tEPKSG_.numbered_sgpr, 50
	.set _ZN9rocsparseL20kernel_calculate_cooILi1024ELi64ELb1E21rocsparse_complex_numIfEiiEEvT4_T3_PKS3_S6_PKT2_21rocsparse_index_base_PKS4_SC_S6_SC_SC_S6_SC_PS7_PNS_15floating_traitsIS7_E6data_tEPKSG_.num_named_barrier, 0
	.set _ZN9rocsparseL20kernel_calculate_cooILi1024ELi64ELb1E21rocsparse_complex_numIfEiiEEvT4_T3_PKS3_S6_PKT2_21rocsparse_index_base_PKS4_SC_S6_SC_SC_S6_SC_PS7_PNS_15floating_traitsIS7_E6data_tEPKSG_.private_seg_size, 0
	.set _ZN9rocsparseL20kernel_calculate_cooILi1024ELi64ELb1E21rocsparse_complex_numIfEiiEEvT4_T3_PKS3_S6_PKT2_21rocsparse_index_base_PKS4_SC_S6_SC_SC_S6_SC_PS7_PNS_15floating_traitsIS7_E6data_tEPKSG_.uses_vcc, 1
	.set _ZN9rocsparseL20kernel_calculate_cooILi1024ELi64ELb1E21rocsparse_complex_numIfEiiEEvT4_T3_PKS3_S6_PKT2_21rocsparse_index_base_PKS4_SC_S6_SC_SC_S6_SC_PS7_PNS_15floating_traitsIS7_E6data_tEPKSG_.uses_flat_scratch, 0
	.set _ZN9rocsparseL20kernel_calculate_cooILi1024ELi64ELb1E21rocsparse_complex_numIfEiiEEvT4_T3_PKS3_S6_PKT2_21rocsparse_index_base_PKS4_SC_S6_SC_SC_S6_SC_PS7_PNS_15floating_traitsIS7_E6data_tEPKSG_.has_dyn_sized_stack, 0
	.set _ZN9rocsparseL20kernel_calculate_cooILi1024ELi64ELb1E21rocsparse_complex_numIfEiiEEvT4_T3_PKS3_S6_PKT2_21rocsparse_index_base_PKS4_SC_S6_SC_SC_S6_SC_PS7_PNS_15floating_traitsIS7_E6data_tEPKSG_.has_recursion, 0
	.set _ZN9rocsparseL20kernel_calculate_cooILi1024ELi64ELb1E21rocsparse_complex_numIfEiiEEvT4_T3_PKS3_S6_PKT2_21rocsparse_index_base_PKS4_SC_S6_SC_SC_S6_SC_PS7_PNS_15floating_traitsIS7_E6data_tEPKSG_.has_indirect_call, 0
	.section	.AMDGPU.csdata,"",@progbits
; Kernel info:
; codeLenInByte = 2948
; TotalNumSgprs: 56
; NumVgprs: 28
; NumAgprs: 0
; TotalNumVgprs: 28
; ScratchSize: 0
; MemoryBound: 0
; FloatMode: 240
; IeeeMode: 1
; LDSByteSize: 64 bytes/workgroup (compile time only)
; SGPRBlocks: 6
; VGPRBlocks: 3
; NumSGPRsForWavesPerEU: 56
; NumVGPRsForWavesPerEU: 28
; AccumOffset: 28
; Occupancy: 8
; WaveLimiterHint : 1
; COMPUTE_PGM_RSRC2:SCRATCH_EN: 0
; COMPUTE_PGM_RSRC2:USER_SGPR: 2
; COMPUTE_PGM_RSRC2:TRAP_HANDLER: 0
; COMPUTE_PGM_RSRC2:TGID_X_EN: 1
; COMPUTE_PGM_RSRC2:TGID_Y_EN: 0
; COMPUTE_PGM_RSRC2:TGID_Z_EN: 0
; COMPUTE_PGM_RSRC2:TIDIG_COMP_CNT: 0
; COMPUTE_PGM_RSRC3_GFX90A:ACCUM_OFFSET: 6
; COMPUTE_PGM_RSRC3_GFX90A:TG_SPLIT: 0
	.section	.text._ZN9rocsparseL16kernel_calculateILi1024ELi1ELb1E21rocsparse_complex_numIfEiiEEvT4_T3_PKS4_S6_PKS3_PKT2_21rocsparse_index_base_S6_S6_S8_S6_S6_S8_S6_PS9_PNS_15floating_traitsIS9_E6data_tEPKSG_,"axG",@progbits,_ZN9rocsparseL16kernel_calculateILi1024ELi1ELb1E21rocsparse_complex_numIfEiiEEvT4_T3_PKS4_S6_PKS3_PKT2_21rocsparse_index_base_S6_S6_S8_S6_S6_S8_S6_PS9_PNS_15floating_traitsIS9_E6data_tEPKSG_,comdat
	.globl	_ZN9rocsparseL16kernel_calculateILi1024ELi1ELb1E21rocsparse_complex_numIfEiiEEvT4_T3_PKS4_S6_PKS3_PKT2_21rocsparse_index_base_S6_S6_S8_S6_S6_S8_S6_PS9_PNS_15floating_traitsIS9_E6data_tEPKSG_ ; -- Begin function _ZN9rocsparseL16kernel_calculateILi1024ELi1ELb1E21rocsparse_complex_numIfEiiEEvT4_T3_PKS4_S6_PKS3_PKT2_21rocsparse_index_base_S6_S6_S8_S6_S6_S8_S6_PS9_PNS_15floating_traitsIS9_E6data_tEPKSG_
	.p2align	8
	.type	_ZN9rocsparseL16kernel_calculateILi1024ELi1ELb1E21rocsparse_complex_numIfEiiEEvT4_T3_PKS4_S6_PKS3_PKT2_21rocsparse_index_base_S6_S6_S8_S6_S6_S8_S6_PS9_PNS_15floating_traitsIS9_E6data_tEPKSG_,@function
_ZN9rocsparseL16kernel_calculateILi1024ELi1ELb1E21rocsparse_complex_numIfEiiEEvT4_T3_PKS4_S6_PKS3_PKT2_21rocsparse_index_base_S6_S6_S8_S6_S6_S8_S6_PS9_PNS_15floating_traitsIS9_E6data_tEPKSG_: ; @_ZN9rocsparseL16kernel_calculateILi1024ELi1ELb1E21rocsparse_complex_numIfEiiEEvT4_T3_PKS4_S6_PKS3_PKT2_21rocsparse_index_base_S6_S6_S8_S6_S6_S8_S6_PS9_PNS_15floating_traitsIS9_E6data_tEPKSG_
; %bb.0:
	s_load_dword s3, s[0:1], 0x0
	v_lshl_or_b32 v2, s2, 10, v0
	v_mov_b32_e32 v1, 0
	s_waitcnt lgkmcnt(0)
	v_cmp_gt_i32_e32 vcc, s3, v2
	s_and_saveexec_b64 s[24:25], vcc
	s_cbranch_execz .LBB38_44
; %bb.1:
	s_load_dwordx4 s[4:7], s[0:1], 0x8
	v_ashrrev_i32_e32 v3, 31, v2
	v_lshlrev_b64 v[4:5], 2, v[2:3]
	v_mov_b32_e32 v1, 0
	s_waitcnt lgkmcnt(0)
	v_lshl_add_u64 v[8:9], s[6:7], 0, v[4:5]
	v_lshl_add_u64 v[10:11], s[4:5], 0, v[4:5]
	global_load_dword v6, v[8:9], off
	global_load_dword v7, v[10:11], off
	s_waitcnt vmcnt(0)
	v_cmp_lt_i32_e32 vcc, v7, v6
	s_and_saveexec_b64 s[26:27], vcc
	s_cbranch_execz .LBB38_43
; %bb.2:
	s_load_dwordx8 s[4:11], s[0:1], 0x30
	v_mov_b32_e32 v1, 0
	s_mov_b64 s[28:29], 0
	s_mov_b32 s42, 0xf800000
	v_mov_b32_e32 v3, 0x260
	s_waitcnt lgkmcnt(0)
	v_lshl_add_u64 v[8:9], s[4:5], 0, v[4:5]
	v_lshl_add_u64 v[4:5], s[6:7], 0, v[4:5]
	global_load_dword v10, v[4:5], off
	global_load_dword v11, v[8:9], off
	s_load_dwordx8 s[12:19], s[0:1], 0x50
	s_load_dwordx4 s[20:23], s[0:1], 0x18
	s_load_dword s33, s[0:1], 0x28
	s_movk_i32 s43, 0x1f8
	s_mov_b32 s44, 0x7f800000
	s_waitcnt lgkmcnt(0)
	v_subrev_u32_e32 v22, s33, v6
	v_subrev_u32_e32 v4, s33, v7
	s_waitcnt vmcnt(1)
	v_subrev_u32_e32 v23, s33, v10
	s_waitcnt vmcnt(0)
	v_subrev_u32_e32 v24, s33, v11
	v_cmp_lt_i32_e64 s[2:3], v11, v10
	s_branch .LBB38_4
.LBB38_3:                               ;   in Loop: Header=BB38_4 Depth=1
	s_or_b64 exec, exec, s[4:5]
	v_cmp_nlg_f32_e64 s[4:5], |v8|, s44
	v_cmp_gt_f32_e32 vcc, v1, v8
	v_add_u32_e32 v4, 1, v4
	s_or_b64 vcc, s[4:5], vcc
	v_cmp_ge_i32_e64 s[4:5], v4, v22
	s_or_b64 s[28:29], s[4:5], s[28:29]
	v_cndmask_b32_e32 v1, v8, v1, vcc
	s_andn2_b64 exec, exec, s[28:29]
	s_cbranch_execz .LBB38_42
.LBB38_4:                               ; =>This Loop Header: Depth=1
                                        ;     Child Loop BB38_7 Depth 2
                                        ;     Child Loop BB38_15 Depth 2
	;; [unrolled: 1-line block ×3, first 2 shown]
	v_ashrrev_i32_e32 v5, 31, v4
	v_lshl_add_u64 v[6:7], v[4:5], 2, s[20:21]
	global_load_dword v25, v[6:7], off
	v_mov_b32_e32 v19, 0
	v_mov_b32_e32 v18, 0
	s_waitcnt vmcnt(0)
	v_subrev_u32_e32 v8, s33, v25
	v_ashrrev_i32_e32 v9, 31, v8
	v_lshlrev_b64 v[6:7], 2, v[8:9]
	v_lshl_add_u64 v[10:11], s[6:7], 0, v[6:7]
	global_load_dword v9, v[10:11], off
	v_lshl_add_u64 v[10:11], s[12:13], 0, v[6:7]
	v_lshl_add_u64 v[6:7], s[10:11], 0, v[6:7]
	global_load_dword v13, v[6:7], off
	v_lshl_add_u64 v[6:7], v[4:5], 3, s[22:23]
	global_load_dwordx2 v[16:17], v[6:7], off
	global_load_dword v12, v[10:11], off
	s_waitcnt vmcnt(3)
	v_subrev_u32_e32 v6, s33, v9
	v_ashrrev_i32_e32 v7, 31, v6
	v_lshl_add_u64 v[6:7], v[6:7], 3, s[18:19]
	global_load_dwordx2 v[10:11], v[6:7], off
	s_waitcnt vmcnt(3)
	v_subrev_u32_e32 v14, s33, v13
	s_waitcnt vmcnt(1)
	v_cmp_lt_i32_e32 vcc, v13, v12
	v_subrev_u32_e32 v9, s33, v12
	s_and_b64 s[4:5], s[2:3], vcc
	v_mov_b32_e32 v12, v24
	s_and_saveexec_b64 s[30:31], s[4:5]
	s_cbranch_execz .LBB38_10
; %bb.5:                                ;   in Loop: Header=BB38_4 Depth=1
	v_mov_b32_e32 v18, 0
	s_mov_b64 s[34:35], 0
	v_mov_b32_e32 v12, v24
	v_mov_b32_e32 v19, v18
	s_branch .LBB38_7
.LBB38_6:                               ;   in Loop: Header=BB38_7 Depth=2
	s_or_b64 exec, exec, s[4:5]
	v_cmp_le_i32_e32 vcc, v6, v7
	s_nop 1
	v_addc_co_u32_e32 v12, vcc, 0, v12, vcc
	v_cmp_ge_i32_e32 vcc, v6, v7
	s_nop 1
	v_addc_co_u32_e32 v14, vcc, 0, v14, vcc
	v_cmp_ge_i32_e32 vcc, v12, v23
	v_cmp_ge_i32_e64 s[4:5], v14, v9
	s_or_b64 s[4:5], vcc, s[4:5]
	s_and_b64 s[4:5], exec, s[4:5]
	s_or_b64 s[34:35], s[4:5], s[34:35]
	s_andn2_b64 exec, exec, s[34:35]
	s_cbranch_execz .LBB38_9
.LBB38_7:                               ;   Parent Loop BB38_4 Depth=1
                                        ; =>  This Inner Loop Header: Depth=2
	v_ashrrev_i32_e32 v13, 31, v12
	v_ashrrev_i32_e32 v15, 31, v14
	v_lshl_add_u64 v[6:7], v[12:13], 2, s[8:9]
	v_lshl_add_u64 v[20:21], v[14:15], 2, s[14:15]
	global_load_dword v6, v[6:7], off
	s_nop 0
	global_load_dword v7, v[20:21], off
	s_waitcnt vmcnt(0)
	v_cmp_eq_u32_e32 vcc, v6, v7
	s_and_saveexec_b64 s[4:5], vcc
	s_cbranch_execz .LBB38_6
; %bb.8:                                ;   in Loop: Header=BB38_7 Depth=2
	v_lshl_add_u64 v[20:21], v[14:15], 2, s[16:17]
	global_load_dword v20, v[20:21], off
	v_lshl_add_u64 v[26:27], v[12:13], 3, s[18:19]
	global_load_dwordx2 v[26:27], v[26:27], off
	s_waitcnt vmcnt(1)
	v_ashrrev_i32_e32 v21, 31, v20
	v_lshl_add_u64 v[20:21], v[20:21], 3, s[18:19]
	global_load_dwordx2 v[20:21], v[20:21], off
	s_waitcnt vmcnt(1)
	v_xor_b32_e32 v28, 0x80000000, v27
	v_mov_b32_e32 v29, v26
	s_waitcnt vmcnt(0)
	v_pk_fma_f32 v[18:19], v[26:27], v[20:21], v[18:19] op_sel_hi:[1,0,1]
	s_nop 0
	v_pk_fma_f32 v[18:19], v[28:29], v[20:21], v[18:19] op_sel:[0,1,0]
	s_branch .LBB38_6
.LBB38_9:                               ;   in Loop: Header=BB38_4 Depth=1
	s_or_b64 exec, exec, s[34:35]
.LBB38_10:                              ;   in Loop: Header=BB38_4 Depth=1
	s_or_b64 exec, exec, s[30:31]
	v_pk_add_f32 v[6:7], v[16:17], v[18:19] neg_lo:[0,1] neg_hi:[0,1]
	v_cmp_gt_i32_e32 vcc, v2, v8
	s_and_saveexec_b64 s[4:5], vcc
	s_cbranch_execz .LBB38_12
; %bb.11:                               ;   in Loop: Header=BB38_4 Depth=1
	s_waitcnt vmcnt(0)
	v_mul_f32_e32 v13, v11, v11
	v_fmac_f32_e32 v13, v10, v10
	v_div_scale_f32 v15, s[30:31], v13, v13, 1.0
	v_rcp_f32_e32 v20, v15
	v_div_scale_f32 v21, vcc, 1.0, v13, 1.0
	v_mov_b32_e32 v28, v11
	v_fma_f32 v26, -v15, v20, 1.0
	v_fmac_f32_e32 v20, v26, v20
	v_mul_f32_e32 v26, v21, v20
	v_fma_f32 v27, -v15, v26, v21
	v_fmac_f32_e32 v26, v27, v20
	v_fma_f32 v15, -v15, v26, v21
	v_div_fmas_f32 v15, v15, v20, v26
	v_xor_b32_e32 v27, 0x80000000, v6
	v_mov_b32_e32 v26, v7
	v_pk_mul_f32 v[26:27], v[28:29], v[26:27] op_sel_hi:[0,1]
	v_div_fixup_f32 v20, v15, v13, 1.0
	v_pk_fma_f32 v[6:7], v[6:7], v[10:11], v[26:27] op_sel_hi:[1,0,1]
	s_nop 0
	v_pk_mul_f32 v[6:7], v[20:21], v[6:7] op_sel_hi:[0,1]
.LBB38_12:                              ;   in Loop: Header=BB38_4 Depth=1
	s_or_b64 exec, exec, s[4:5]
	v_pk_add_f32 v[16:17], v[18:19], v[16:17] neg_lo:[0,1] neg_hi:[0,1]
	v_cmp_lt_i32_e32 vcc, v14, v9
	s_and_saveexec_b64 s[4:5], vcc
	s_cbranch_execz .LBB38_20
; %bb.13:                               ;   in Loop: Header=BB38_4 Depth=1
	v_ashrrev_i32_e32 v15, 31, v14
	v_lshl_add_u64 v[18:19], v[14:15], 2, s[14:15]
	s_mov_b64 s[30:31], 0
                                        ; implicit-def: $sgpr34_sgpr35
                                        ; implicit-def: $sgpr38_sgpr39
                                        ; implicit-def: $sgpr36_sgpr37
	s_branch .LBB38_15
.LBB38_14:                              ;   in Loop: Header=BB38_15 Depth=2
	s_or_b64 exec, exec, s[40:41]
	s_and_b64 s[40:41], exec, s[38:39]
	s_or_b64 s[30:31], s[40:41], s[30:31]
	s_andn2_b64 s[34:35], s[34:35], exec
	s_and_b64 s[40:41], s[36:37], exec
	s_or_b64 s[34:35], s[34:35], s[40:41]
	s_andn2_b64 exec, exec, s[30:31]
	s_cbranch_execz .LBB38_17
.LBB38_15:                              ;   Parent Loop BB38_4 Depth=1
                                        ; =>  This Inner Loop Header: Depth=2
	global_load_dword v13, v[18:19], off
	v_mov_b64_e32 v[20:21], v[14:15]
	s_or_b64 s[36:37], s[36:37], exec
	s_or_b64 s[38:39], s[38:39], exec
                                        ; implicit-def: $vgpr14_vgpr15
	s_waitcnt vmcnt(0)
	v_subrev_u32_e32 v13, s33, v13
	v_cmp_ne_u32_e32 vcc, v13, v2
	s_and_saveexec_b64 s[40:41], vcc
	s_cbranch_execz .LBB38_14
; %bb.16:                               ;   in Loop: Header=BB38_15 Depth=2
	v_lshl_add_u64 v[14:15], v[20:21], 0, 1
	v_cmp_ge_i32_e32 vcc, v14, v9
	s_andn2_b64 s[38:39], s[38:39], exec
	s_and_b64 s[46:47], vcc, exec
	v_lshl_add_u64 v[18:19], v[18:19], 0, 4
	s_andn2_b64 s[36:37], s[36:37], exec
	s_or_b64 s[38:39], s[38:39], s[46:47]
	s_branch .LBB38_14
.LBB38_17:                              ;   in Loop: Header=BB38_4 Depth=1
	s_or_b64 exec, exec, s[30:31]
	s_and_saveexec_b64 s[30:31], s[34:35]
	s_xor_b64 s[30:31], exec, s[30:31]
	s_cbranch_execz .LBB38_19
; %bb.18:                               ;   in Loop: Header=BB38_4 Depth=1
	v_lshl_add_u64 v[14:15], v[20:21], 2, s[16:17]
	global_load_dword v14, v[14:15], off
	s_waitcnt vmcnt(0)
	v_ashrrev_i32_e32 v15, 31, v14
	v_lshl_add_u64 v[14:15], v[14:15], 3, s[18:19]
	global_load_dwordx2 v[14:15], v[14:15], off
	s_waitcnt vmcnt(0)
	v_pk_add_f32 v[16:17], v[16:17], v[14:15]
.LBB38_19:                              ;   in Loop: Header=BB38_4 Depth=1
	s_or_b64 exec, exec, s[30:31]
.LBB38_20:                              ;   in Loop: Header=BB38_4 Depth=1
	s_or_b64 exec, exec, s[4:5]
	v_cmp_lt_i32_e32 vcc, v12, v23
	s_and_saveexec_b64 s[4:5], vcc
	s_cbranch_execz .LBB38_28
; %bb.21:                               ;   in Loop: Header=BB38_4 Depth=1
	v_ashrrev_i32_e32 v13, 31, v12
	v_lshl_add_u64 v[14:15], v[12:13], 2, s[8:9]
	s_mov_b64 s[30:31], 0
                                        ; implicit-def: $sgpr34_sgpr35
                                        ; implicit-def: $sgpr38_sgpr39
                                        ; implicit-def: $sgpr36_sgpr37
	s_branch .LBB38_23
.LBB38_22:                              ;   in Loop: Header=BB38_23 Depth=2
	s_or_b64 exec, exec, s[40:41]
	s_and_b64 s[40:41], exec, s[38:39]
	s_or_b64 s[30:31], s[40:41], s[30:31]
	s_andn2_b64 s[34:35], s[34:35], exec
	s_and_b64 s[40:41], s[36:37], exec
	s_or_b64 s[34:35], s[34:35], s[40:41]
	s_andn2_b64 exec, exec, s[30:31]
	s_cbranch_execz .LBB38_25
.LBB38_23:                              ;   Parent Loop BB38_4 Depth=1
                                        ; =>  This Inner Loop Header: Depth=2
	global_load_dword v9, v[14:15], off
	v_mov_b64_e32 v[18:19], v[12:13]
	s_or_b64 s[36:37], s[36:37], exec
	s_or_b64 s[38:39], s[38:39], exec
                                        ; implicit-def: $vgpr12_vgpr13
	s_waitcnt vmcnt(0)
	v_cmp_ne_u32_e32 vcc, v9, v25
	s_and_saveexec_b64 s[40:41], vcc
	s_cbranch_execz .LBB38_22
; %bb.24:                               ;   in Loop: Header=BB38_23 Depth=2
	v_lshl_add_u64 v[12:13], v[18:19], 0, 1
	v_cmp_ge_i32_e32 vcc, v12, v23
	s_andn2_b64 s[38:39], s[38:39], exec
	s_and_b64 s[46:47], vcc, exec
	v_lshl_add_u64 v[14:15], v[14:15], 0, 4
	s_andn2_b64 s[36:37], s[36:37], exec
	s_or_b64 s[38:39], s[38:39], s[46:47]
	s_branch .LBB38_22
.LBB38_25:                              ;   in Loop: Header=BB38_4 Depth=1
	s_or_b64 exec, exec, s[30:31]
	s_and_saveexec_b64 s[30:31], s[34:35]
	s_xor_b64 s[30:31], exec, s[30:31]
	s_cbranch_execz .LBB38_27
; %bb.26:                               ;   in Loop: Header=BB38_4 Depth=1
	v_lshl_add_u64 v[12:13], v[18:19], 3, s[18:19]
	global_load_dwordx2 v[12:13], v[12:13], off
	s_waitcnt vmcnt(0)
	v_xor_b32_e32 v14, 0x80000000, v13
	v_pk_fma_f32 v[16:17], v[12:13], v[10:11], v[16:17] op_sel_hi:[1,0,1]
	v_mov_b32_e32 v15, v12
	v_mov_b32_e32 v12, v11
	v_pk_fma_f32 v[16:17], v[14:15], v[12:13], v[16:17] op_sel_hi:[1,0,1]
.LBB38_27:                              ;   in Loop: Header=BB38_4 Depth=1
	s_or_b64 exec, exec, s[30:31]
.LBB38_28:                              ;   in Loop: Header=BB38_4 Depth=1
	s_or_b64 exec, exec, s[4:5]
	s_waitcnt vmcnt(0)
	v_add_f32_e32 v9, v10, v16
	v_cmp_eq_u32_e32 vcc, v2, v8
	v_add_f32_e32 v10, v11, v17
	s_nop 0
	v_cndmask_b32_e32 v8, v16, v9, vcc
	v_cndmask_b32_e32 v11, v17, v10, vcc
	v_cmp_gt_f32_e32 vcc, 0, v8
	s_nop 1
	v_cndmask_b32_e64 v9, v8, -v8, vcc
	v_cmp_gt_f32_e32 vcc, 0, v11
                                        ; implicit-def: $vgpr8
	s_nop 1
	v_cndmask_b32_e64 v10, v11, -v11, vcc
	v_cmp_ngt_f32_e32 vcc, v9, v10
	s_and_saveexec_b64 s[4:5], vcc
	s_xor_b64 s[30:31], exec, s[4:5]
	s_cbranch_execz .LBB38_32
; %bb.29:                               ;   in Loop: Header=BB38_4 Depth=1
	v_mov_b32_e32 v8, 0
	v_cmp_neq_f32_e32 vcc, 0, v11
	s_and_saveexec_b64 s[34:35], vcc
	s_cbranch_execz .LBB38_31
; %bb.30:                               ;   in Loop: Header=BB38_4 Depth=1
	v_div_scale_f32 v8, s[4:5], v10, v10, v9
	v_rcp_f32_e32 v11, v8
	v_div_scale_f32 v12, vcc, v9, v10, v9
	v_fma_f32 v13, -v8, v11, 1.0
	v_fmac_f32_e32 v11, v13, v11
	v_mul_f32_e32 v13, v12, v11
	v_fma_f32 v14, -v8, v13, v12
	v_fmac_f32_e32 v13, v14, v11
	v_fma_f32 v8, -v8, v13, v12
	v_div_fmas_f32 v8, v8, v11, v13
	v_div_fixup_f32 v8, v8, v10, v9
	v_fma_f32 v8, v8, v8, 1.0
	v_mul_f32_e32 v9, 0x4f800000, v8
	v_cmp_gt_f32_e32 vcc, s42, v8
	s_nop 1
	v_cndmask_b32_e32 v8, v8, v9, vcc
	v_sqrt_f32_e32 v9, v8
	s_nop 0
	v_add_u32_e32 v11, -1, v9
	v_fma_f32 v12, -v11, v9, v8
	v_cmp_ge_f32_e64 s[4:5], 0, v12
	v_add_u32_e32 v12, 1, v9
	s_nop 0
	v_cndmask_b32_e64 v11, v9, v11, s[4:5]
	v_fma_f32 v9, -v12, v9, v8
	v_cmp_lt_f32_e64 s[4:5], 0, v9
	s_nop 1
	v_cndmask_b32_e64 v9, v11, v12, s[4:5]
	v_mul_f32_e32 v11, 0x37800000, v9
	v_cndmask_b32_e32 v9, v9, v11, vcc
	v_cmp_class_f32_e32 vcc, v8, v3
	s_nop 1
	v_cndmask_b32_e32 v8, v9, v8, vcc
	v_mul_f32_e32 v8, v10, v8
.LBB38_31:                              ;   in Loop: Header=BB38_4 Depth=1
	s_or_b64 exec, exec, s[34:35]
                                        ; implicit-def: $vgpr9
                                        ; implicit-def: $vgpr10
.LBB38_32:                              ;   in Loop: Header=BB38_4 Depth=1
	s_andn2_saveexec_b64 s[30:31], s[30:31]
	s_cbranch_execz .LBB38_34
; %bb.33:                               ;   in Loop: Header=BB38_4 Depth=1
	v_div_scale_f32 v8, s[4:5], v9, v9, v10
	v_rcp_f32_e32 v11, v8
	v_div_scale_f32 v12, vcc, v10, v9, v10
	v_fma_f32 v13, -v8, v11, 1.0
	v_fmac_f32_e32 v11, v13, v11
	v_mul_f32_e32 v13, v12, v11
	v_fma_f32 v14, -v8, v13, v12
	v_fmac_f32_e32 v13, v14, v11
	v_fma_f32 v8, -v8, v13, v12
	v_div_fmas_f32 v8, v8, v11, v13
	v_div_fixup_f32 v8, v8, v9, v10
	v_fma_f32 v8, v8, v8, 1.0
	v_mul_f32_e32 v10, 0x4f800000, v8
	v_cmp_gt_f32_e32 vcc, s42, v8
	s_nop 1
	v_cndmask_b32_e32 v8, v8, v10, vcc
	v_sqrt_f32_e32 v10, v8
	s_nop 0
	v_add_u32_e32 v11, -1, v10
	v_fma_f32 v12, -v11, v10, v8
	v_cmp_ge_f32_e64 s[4:5], 0, v12
	v_add_u32_e32 v12, 1, v10
	s_nop 0
	v_cndmask_b32_e64 v11, v10, v11, s[4:5]
	v_fma_f32 v10, -v12, v10, v8
	v_cmp_lt_f32_e64 s[4:5], 0, v10
	s_nop 1
	v_cndmask_b32_e64 v10, v11, v12, s[4:5]
	v_mul_f32_e32 v11, 0x37800000, v10
	v_cndmask_b32_e32 v10, v10, v11, vcc
	v_cmp_class_f32_e32 vcc, v8, v3
	s_nop 1
	v_cndmask_b32_e32 v8, v10, v8, vcc
	v_mul_f32_e32 v8, v9, v8
.LBB38_34:                              ;   in Loop: Header=BB38_4 Depth=1
	s_or_b64 exec, exec, s[30:31]
	v_cmp_gt_f32_e32 vcc, 0, v6
                                        ; implicit-def: $vgpr11
	s_nop 1
	v_cndmask_b32_e64 v9, v6, -v6, vcc
	v_cmp_gt_f32_e32 vcc, 0, v7
	s_nop 1
	v_cndmask_b32_e64 v10, v7, -v7, vcc
	v_cmp_ngt_f32_e32 vcc, v9, v10
	s_and_saveexec_b64 s[4:5], vcc
	s_xor_b64 s[30:31], exec, s[4:5]
	s_cbranch_execnz .LBB38_37
; %bb.35:                               ;   in Loop: Header=BB38_4 Depth=1
	s_andn2_saveexec_b64 s[30:31], s[30:31]
	s_cbranch_execnz .LBB38_40
.LBB38_36:                              ;   in Loop: Header=BB38_4 Depth=1
	s_or_b64 exec, exec, s[30:31]
	v_cmp_class_f32_e64 s[30:31], v11, s43
	s_and_saveexec_b64 s[4:5], s[30:31]
	s_cbranch_execz .LBB38_3
	s_branch .LBB38_41
.LBB38_37:                              ;   in Loop: Header=BB38_4 Depth=1
	v_mov_b32_e32 v11, 0
	v_cmp_neq_f32_e32 vcc, 0, v7
	s_and_saveexec_b64 s[34:35], vcc
	s_cbranch_execz .LBB38_39
; %bb.38:                               ;   in Loop: Header=BB38_4 Depth=1
	v_div_scale_f32 v11, s[4:5], v10, v10, v9
	v_rcp_f32_e32 v12, v11
	v_div_scale_f32 v13, vcc, v9, v10, v9
	v_fma_f32 v14, -v11, v12, 1.0
	v_fmac_f32_e32 v12, v14, v12
	v_mul_f32_e32 v14, v13, v12
	v_fma_f32 v15, -v11, v14, v13
	v_fmac_f32_e32 v14, v15, v12
	v_fma_f32 v11, -v11, v14, v13
	v_div_fmas_f32 v11, v11, v12, v14
	v_div_fixup_f32 v9, v11, v10, v9
	v_fma_f32 v9, v9, v9, 1.0
	v_mul_f32_e32 v11, 0x4f800000, v9
	v_cmp_gt_f32_e32 vcc, s42, v9
	s_nop 1
	v_cndmask_b32_e32 v9, v9, v11, vcc
	v_sqrt_f32_e32 v11, v9
	s_nop 0
	v_add_u32_e32 v12, -1, v11
	v_fma_f32 v13, -v12, v11, v9
	v_cmp_ge_f32_e64 s[4:5], 0, v13
	v_add_u32_e32 v13, 1, v11
	s_nop 0
	v_cndmask_b32_e64 v12, v11, v12, s[4:5]
	v_fma_f32 v11, -v13, v11, v9
	v_cmp_lt_f32_e64 s[4:5], 0, v11
	s_nop 1
	v_cndmask_b32_e64 v11, v12, v13, s[4:5]
	v_mul_f32_e32 v12, 0x37800000, v11
	v_cndmask_b32_e32 v11, v11, v12, vcc
	v_cmp_class_f32_e32 vcc, v9, v3
	s_nop 1
	v_cndmask_b32_e32 v9, v11, v9, vcc
	v_mul_f32_e32 v11, v10, v9
.LBB38_39:                              ;   in Loop: Header=BB38_4 Depth=1
	s_or_b64 exec, exec, s[34:35]
                                        ; implicit-def: $vgpr9
                                        ; implicit-def: $vgpr10
	s_andn2_saveexec_b64 s[30:31], s[30:31]
	s_cbranch_execz .LBB38_36
.LBB38_40:                              ;   in Loop: Header=BB38_4 Depth=1
	v_div_scale_f32 v11, s[4:5], v9, v9, v10
	v_rcp_f32_e32 v12, v11
	v_div_scale_f32 v13, vcc, v10, v9, v10
	v_fma_f32 v14, -v11, v12, 1.0
	v_fmac_f32_e32 v12, v14, v12
	v_mul_f32_e32 v14, v13, v12
	v_fma_f32 v15, -v11, v14, v13
	v_fmac_f32_e32 v14, v15, v12
	v_fma_f32 v11, -v11, v14, v13
	v_div_fmas_f32 v11, v11, v12, v14
	v_div_fixup_f32 v10, v11, v9, v10
	v_fma_f32 v10, v10, v10, 1.0
	v_mul_f32_e32 v11, 0x4f800000, v10
	v_cmp_gt_f32_e32 vcc, s42, v10
	s_nop 1
	v_cndmask_b32_e32 v10, v10, v11, vcc
	v_sqrt_f32_e32 v11, v10
	s_nop 0
	v_add_u32_e32 v12, -1, v11
	v_fma_f32 v13, -v12, v11, v10
	v_cmp_ge_f32_e64 s[4:5], 0, v13
	v_add_u32_e32 v13, 1, v11
	s_nop 0
	v_cndmask_b32_e64 v12, v11, v12, s[4:5]
	v_fma_f32 v11, -v13, v11, v10
	v_cmp_lt_f32_e64 s[4:5], 0, v11
	s_nop 1
	v_cndmask_b32_e64 v11, v12, v13, s[4:5]
	v_mul_f32_e32 v12, 0x37800000, v11
	v_cndmask_b32_e32 v11, v11, v12, vcc
	v_cmp_class_f32_e32 vcc, v10, v3
	s_nop 1
	v_cndmask_b32_e32 v10, v11, v10, vcc
	v_mul_f32_e32 v11, v9, v10
	s_or_b64 exec, exec, s[30:31]
	v_cmp_class_f32_e64 s[30:31], v11, s43
	s_and_saveexec_b64 s[4:5], s[30:31]
	s_cbranch_execz .LBB38_3
.LBB38_41:                              ;   in Loop: Header=BB38_4 Depth=1
	v_lshl_add_u64 v[10:11], v[4:5], 3, s[18:19]
	global_store_dwordx2 v[10:11], v[6:7], off
	s_branch .LBB38_3
.LBB38_42:
	s_or_b64 exec, exec, s[28:29]
.LBB38_43:
	s_or_b64 exec, exec, s[26:27]
.LBB38_44:
	s_or_b64 exec, exec, s[24:25]
	s_movk_i32 s2, 0x200
	v_lshlrev_b32_e32 v2, 2, v0
	v_cmp_gt_u32_e32 vcc, s2, v0
	ds_write_b32 v2, v1
	s_waitcnt lgkmcnt(0)
	s_barrier
	s_and_saveexec_b64 s[2:3], vcc
	s_cbranch_execz .LBB38_46
; %bb.45:
	ds_read2st64_b32 v[4:5], v2 offset1:8
	s_waitcnt lgkmcnt(0)
	v_cmp_lt_f32_e32 vcc, v4, v5
	s_nop 1
	v_cndmask_b32_e32 v1, v4, v5, vcc
	ds_write_b32 v2, v1
.LBB38_46:
	s_or_b64 exec, exec, s[2:3]
	s_movk_i32 s2, 0x100
	v_cmp_gt_u32_e32 vcc, s2, v0
	s_waitcnt lgkmcnt(0)
	s_barrier
	s_and_saveexec_b64 s[2:3], vcc
	s_cbranch_execz .LBB38_48
; %bb.47:
	ds_read2st64_b32 v[4:5], v2 offset1:4
	s_waitcnt lgkmcnt(0)
	v_cmp_lt_f32_e32 vcc, v4, v5
	s_nop 1
	v_cndmask_b32_e32 v1, v4, v5, vcc
	ds_write_b32 v2, v1
.LBB38_48:
	s_or_b64 exec, exec, s[2:3]
	s_movk_i32 s2, 0x80
	v_cmp_gt_u32_e32 vcc, s2, v0
	s_waitcnt lgkmcnt(0)
	s_barrier
	s_and_saveexec_b64 s[2:3], vcc
	s_cbranch_execz .LBB38_50
; %bb.49:
	ds_read2st64_b32 v[4:5], v2 offset1:2
	s_waitcnt lgkmcnt(0)
	v_cmp_lt_f32_e32 vcc, v4, v5
	s_nop 1
	v_cndmask_b32_e32 v1, v4, v5, vcc
	ds_write_b32 v2, v1
.LBB38_50:
	s_or_b64 exec, exec, s[2:3]
	v_cmp_gt_u32_e32 vcc, 64, v0
	s_waitcnt lgkmcnt(0)
	s_barrier
	s_and_saveexec_b64 s[2:3], vcc
	s_cbranch_execz .LBB38_52
; %bb.51:
	ds_read2st64_b32 v[4:5], v2 offset1:1
	s_waitcnt lgkmcnt(0)
	v_cmp_lt_f32_e32 vcc, v4, v5
	s_nop 1
	v_cndmask_b32_e32 v1, v4, v5, vcc
	ds_write_b32 v2, v1
.LBB38_52:
	s_or_b64 exec, exec, s[2:3]
	v_cmp_gt_u32_e32 vcc, 32, v0
	s_waitcnt lgkmcnt(0)
	s_barrier
	s_and_saveexec_b64 s[2:3], vcc
	s_cbranch_execz .LBB38_54
; %bb.53:
	ds_read2_b32 v[4:5], v2 offset1:32
	s_waitcnt lgkmcnt(0)
	v_cmp_lt_f32_e32 vcc, v4, v5
	s_nop 1
	v_cndmask_b32_e32 v1, v4, v5, vcc
	ds_write_b32 v2, v1
.LBB38_54:
	s_or_b64 exec, exec, s[2:3]
	v_cmp_gt_u32_e32 vcc, 16, v0
	s_waitcnt lgkmcnt(0)
	s_barrier
	s_and_saveexec_b64 s[2:3], vcc
	s_cbranch_execz .LBB38_56
; %bb.55:
	ds_read2_b32 v[4:5], v2 offset1:16
	s_waitcnt lgkmcnt(0)
	v_cmp_lt_f32_e32 vcc, v4, v5
	s_nop 1
	v_cndmask_b32_e32 v1, v4, v5, vcc
	ds_write_b32 v2, v1
.LBB38_56:
	;; [unrolled: 14-line block ×5, first 2 shown]
	s_or_b64 exec, exec, s[2:3]
	v_cmp_eq_u32_e32 vcc, 0, v0
	s_waitcnt lgkmcnt(0)
	s_barrier
	s_and_saveexec_b64 s[4:5], vcc
	s_cbranch_execz .LBB38_64
; %bb.63:
	v_mov_b32_e32 v2, 0
	ds_read_b64 v[0:1], v2
	s_waitcnt lgkmcnt(0)
	v_cmp_lt_f32_e64 s[2:3], v0, v1
	s_nop 1
	v_cndmask_b32_e64 v0, v0, v1, s[2:3]
	ds_write_b32 v2, v0
.LBB38_64:
	s_or_b64 exec, exec, s[4:5]
	s_waitcnt lgkmcnt(0)
	s_barrier
	s_and_saveexec_b64 s[2:3], vcc
	s_cbranch_execz .LBB38_68
; %bb.65:
	v_mbcnt_lo_u32_b32 v0, exec_lo, 0
	v_mbcnt_hi_u32_b32 v0, exec_hi, v0
	v_cmp_eq_u32_e32 vcc, 0, v0
	s_and_b64 exec, exec, vcc
	s_cbranch_execz .LBB38_68
; %bb.66:
	s_load_dwordx4 s[0:3], s[0:1], 0x70
	v_mov_b32_e32 v2, 0
	ds_read_b32 v0, v2
	s_waitcnt lgkmcnt(0)
	s_load_dword s6, s[2:3], 0x0
	s_mov_b64 s[2:3], 0
	s_waitcnt lgkmcnt(0)
	v_div_scale_f32 v1, s[4:5], s6, s6, v0
	v_rcp_f32_e32 v3, v1
	v_div_scale_f32 v4, vcc, v0, s6, v0
	s_load_dword s4, s[0:1], 0x0
	v_fma_f32 v5, -v1, v3, 1.0
	v_fmac_f32_e32 v3, v5, v3
	v_mul_f32_e32 v5, v4, v3
	v_fma_f32 v6, -v1, v5, v4
	v_fmac_f32_e32 v5, v6, v3
	v_fma_f32 v1, -v1, v5, v4
	v_div_fmas_f32 v1, v1, v3, v5
	v_div_fixup_f32 v0, v1, s6, v0
	s_waitcnt lgkmcnt(0)
	v_mov_b32_e32 v1, s4
	v_max_f32_e32 v3, v0, v0
.LBB38_67:                              ; =>This Inner Loop Header: Depth=1
	v_max_f32_e32 v0, v1, v1
	v_max_f32_e32 v0, v0, v3
	global_atomic_cmpswap v0, v2, v[0:1], s[0:1] sc0
	s_waitcnt vmcnt(0)
	v_cmp_eq_u32_e32 vcc, v0, v1
	s_or_b64 s[2:3], vcc, s[2:3]
	v_mov_b32_e32 v1, v0
	s_andn2_b64 exec, exec, s[2:3]
	s_cbranch_execnz .LBB38_67
.LBB38_68:
	s_endpgm
	.section	.rodata,"a",@progbits
	.p2align	6, 0x0
	.amdhsa_kernel _ZN9rocsparseL16kernel_calculateILi1024ELi1ELb1E21rocsparse_complex_numIfEiiEEvT4_T3_PKS4_S6_PKS3_PKT2_21rocsparse_index_base_S6_S6_S8_S6_S6_S8_S6_PS9_PNS_15floating_traitsIS9_E6data_tEPKSG_
		.amdhsa_group_segment_fixed_size 4096
		.amdhsa_private_segment_fixed_size 0
		.amdhsa_kernarg_size 128
		.amdhsa_user_sgpr_count 2
		.amdhsa_user_sgpr_dispatch_ptr 0
		.amdhsa_user_sgpr_queue_ptr 0
		.amdhsa_user_sgpr_kernarg_segment_ptr 1
		.amdhsa_user_sgpr_dispatch_id 0
		.amdhsa_user_sgpr_kernarg_preload_length 0
		.amdhsa_user_sgpr_kernarg_preload_offset 0
		.amdhsa_user_sgpr_private_segment_size 0
		.amdhsa_uses_dynamic_stack 0
		.amdhsa_enable_private_segment 0
		.amdhsa_system_sgpr_workgroup_id_x 1
		.amdhsa_system_sgpr_workgroup_id_y 0
		.amdhsa_system_sgpr_workgroup_id_z 0
		.amdhsa_system_sgpr_workgroup_info 0
		.amdhsa_system_vgpr_workitem_id 0
		.amdhsa_next_free_vgpr 30
		.amdhsa_next_free_sgpr 48
		.amdhsa_accum_offset 32
		.amdhsa_reserve_vcc 1
		.amdhsa_float_round_mode_32 0
		.amdhsa_float_round_mode_16_64 0
		.amdhsa_float_denorm_mode_32 3
		.amdhsa_float_denorm_mode_16_64 3
		.amdhsa_dx10_clamp 1
		.amdhsa_ieee_mode 1
		.amdhsa_fp16_overflow 0
		.amdhsa_tg_split 0
		.amdhsa_exception_fp_ieee_invalid_op 0
		.amdhsa_exception_fp_denorm_src 0
		.amdhsa_exception_fp_ieee_div_zero 0
		.amdhsa_exception_fp_ieee_overflow 0
		.amdhsa_exception_fp_ieee_underflow 0
		.amdhsa_exception_fp_ieee_inexact 0
		.amdhsa_exception_int_div_zero 0
	.end_amdhsa_kernel
	.section	.text._ZN9rocsparseL16kernel_calculateILi1024ELi1ELb1E21rocsparse_complex_numIfEiiEEvT4_T3_PKS4_S6_PKS3_PKT2_21rocsparse_index_base_S6_S6_S8_S6_S6_S8_S6_PS9_PNS_15floating_traitsIS9_E6data_tEPKSG_,"axG",@progbits,_ZN9rocsparseL16kernel_calculateILi1024ELi1ELb1E21rocsparse_complex_numIfEiiEEvT4_T3_PKS4_S6_PKS3_PKT2_21rocsparse_index_base_S6_S6_S8_S6_S6_S8_S6_PS9_PNS_15floating_traitsIS9_E6data_tEPKSG_,comdat
.Lfunc_end38:
	.size	_ZN9rocsparseL16kernel_calculateILi1024ELi1ELb1E21rocsparse_complex_numIfEiiEEvT4_T3_PKS4_S6_PKS3_PKT2_21rocsparse_index_base_S6_S6_S8_S6_S6_S8_S6_PS9_PNS_15floating_traitsIS9_E6data_tEPKSG_, .Lfunc_end38-_ZN9rocsparseL16kernel_calculateILi1024ELi1ELb1E21rocsparse_complex_numIfEiiEEvT4_T3_PKS4_S6_PKS3_PKT2_21rocsparse_index_base_S6_S6_S8_S6_S6_S8_S6_PS9_PNS_15floating_traitsIS9_E6data_tEPKSG_
                                        ; -- End function
	.set _ZN9rocsparseL16kernel_calculateILi1024ELi1ELb1E21rocsparse_complex_numIfEiiEEvT4_T3_PKS4_S6_PKS3_PKT2_21rocsparse_index_base_S6_S6_S8_S6_S6_S8_S6_PS9_PNS_15floating_traitsIS9_E6data_tEPKSG_.num_vgpr, 30
	.set _ZN9rocsparseL16kernel_calculateILi1024ELi1ELb1E21rocsparse_complex_numIfEiiEEvT4_T3_PKS4_S6_PKS3_PKT2_21rocsparse_index_base_S6_S6_S8_S6_S6_S8_S6_PS9_PNS_15floating_traitsIS9_E6data_tEPKSG_.num_agpr, 0
	.set _ZN9rocsparseL16kernel_calculateILi1024ELi1ELb1E21rocsparse_complex_numIfEiiEEvT4_T3_PKS4_S6_PKS3_PKT2_21rocsparse_index_base_S6_S6_S8_S6_S6_S8_S6_PS9_PNS_15floating_traitsIS9_E6data_tEPKSG_.numbered_sgpr, 48
	.set _ZN9rocsparseL16kernel_calculateILi1024ELi1ELb1E21rocsparse_complex_numIfEiiEEvT4_T3_PKS4_S6_PKS3_PKT2_21rocsparse_index_base_S6_S6_S8_S6_S6_S8_S6_PS9_PNS_15floating_traitsIS9_E6data_tEPKSG_.num_named_barrier, 0
	.set _ZN9rocsparseL16kernel_calculateILi1024ELi1ELb1E21rocsparse_complex_numIfEiiEEvT4_T3_PKS4_S6_PKS3_PKT2_21rocsparse_index_base_S6_S6_S8_S6_S6_S8_S6_PS9_PNS_15floating_traitsIS9_E6data_tEPKSG_.private_seg_size, 0
	.set _ZN9rocsparseL16kernel_calculateILi1024ELi1ELb1E21rocsparse_complex_numIfEiiEEvT4_T3_PKS4_S6_PKS3_PKT2_21rocsparse_index_base_S6_S6_S8_S6_S6_S8_S6_PS9_PNS_15floating_traitsIS9_E6data_tEPKSG_.uses_vcc, 1
	.set _ZN9rocsparseL16kernel_calculateILi1024ELi1ELb1E21rocsparse_complex_numIfEiiEEvT4_T3_PKS4_S6_PKS3_PKT2_21rocsparse_index_base_S6_S6_S8_S6_S6_S8_S6_PS9_PNS_15floating_traitsIS9_E6data_tEPKSG_.uses_flat_scratch, 0
	.set _ZN9rocsparseL16kernel_calculateILi1024ELi1ELb1E21rocsparse_complex_numIfEiiEEvT4_T3_PKS4_S6_PKS3_PKT2_21rocsparse_index_base_S6_S6_S8_S6_S6_S8_S6_PS9_PNS_15floating_traitsIS9_E6data_tEPKSG_.has_dyn_sized_stack, 0
	.set _ZN9rocsparseL16kernel_calculateILi1024ELi1ELb1E21rocsparse_complex_numIfEiiEEvT4_T3_PKS4_S6_PKS3_PKT2_21rocsparse_index_base_S6_S6_S8_S6_S6_S8_S6_PS9_PNS_15floating_traitsIS9_E6data_tEPKSG_.has_recursion, 0
	.set _ZN9rocsparseL16kernel_calculateILi1024ELi1ELb1E21rocsparse_complex_numIfEiiEEvT4_T3_PKS4_S6_PKS3_PKT2_21rocsparse_index_base_S6_S6_S8_S6_S6_S8_S6_PS9_PNS_15floating_traitsIS9_E6data_tEPKSG_.has_indirect_call, 0
	.section	.AMDGPU.csdata,"",@progbits
; Kernel info:
; codeLenInByte = 3208
; TotalNumSgprs: 54
; NumVgprs: 30
; NumAgprs: 0
; TotalNumVgprs: 30
; ScratchSize: 0
; MemoryBound: 0
; FloatMode: 240
; IeeeMode: 1
; LDSByteSize: 4096 bytes/workgroup (compile time only)
; SGPRBlocks: 6
; VGPRBlocks: 3
; NumSGPRsForWavesPerEU: 54
; NumVGPRsForWavesPerEU: 30
; AccumOffset: 32
; Occupancy: 8
; WaveLimiterHint : 1
; COMPUTE_PGM_RSRC2:SCRATCH_EN: 0
; COMPUTE_PGM_RSRC2:USER_SGPR: 2
; COMPUTE_PGM_RSRC2:TRAP_HANDLER: 0
; COMPUTE_PGM_RSRC2:TGID_X_EN: 1
; COMPUTE_PGM_RSRC2:TGID_Y_EN: 0
; COMPUTE_PGM_RSRC2:TGID_Z_EN: 0
; COMPUTE_PGM_RSRC2:TIDIG_COMP_CNT: 0
; COMPUTE_PGM_RSRC3_GFX90A:ACCUM_OFFSET: 7
; COMPUTE_PGM_RSRC3_GFX90A:TG_SPLIT: 0
	.section	.text._ZN9rocsparseL16kernel_calculateILi1024ELi2ELb1E21rocsparse_complex_numIfEiiEEvT4_T3_PKS4_S6_PKS3_PKT2_21rocsparse_index_base_S6_S6_S8_S6_S6_S8_S6_PS9_PNS_15floating_traitsIS9_E6data_tEPKSG_,"axG",@progbits,_ZN9rocsparseL16kernel_calculateILi1024ELi2ELb1E21rocsparse_complex_numIfEiiEEvT4_T3_PKS4_S6_PKS3_PKT2_21rocsparse_index_base_S6_S6_S8_S6_S6_S8_S6_PS9_PNS_15floating_traitsIS9_E6data_tEPKSG_,comdat
	.globl	_ZN9rocsparseL16kernel_calculateILi1024ELi2ELb1E21rocsparse_complex_numIfEiiEEvT4_T3_PKS4_S6_PKS3_PKT2_21rocsparse_index_base_S6_S6_S8_S6_S6_S8_S6_PS9_PNS_15floating_traitsIS9_E6data_tEPKSG_ ; -- Begin function _ZN9rocsparseL16kernel_calculateILi1024ELi2ELb1E21rocsparse_complex_numIfEiiEEvT4_T3_PKS4_S6_PKS3_PKT2_21rocsparse_index_base_S6_S6_S8_S6_S6_S8_S6_PS9_PNS_15floating_traitsIS9_E6data_tEPKSG_
	.p2align	8
	.type	_ZN9rocsparseL16kernel_calculateILi1024ELi2ELb1E21rocsparse_complex_numIfEiiEEvT4_T3_PKS4_S6_PKS3_PKT2_21rocsparse_index_base_S6_S6_S8_S6_S6_S8_S6_PS9_PNS_15floating_traitsIS9_E6data_tEPKSG_,@function
_ZN9rocsparseL16kernel_calculateILi1024ELi2ELb1E21rocsparse_complex_numIfEiiEEvT4_T3_PKS4_S6_PKS3_PKT2_21rocsparse_index_base_S6_S6_S8_S6_S6_S8_S6_PS9_PNS_15floating_traitsIS9_E6data_tEPKSG_: ; @_ZN9rocsparseL16kernel_calculateILi1024ELi2ELb1E21rocsparse_complex_numIfEiiEEvT4_T3_PKS4_S6_PKS3_PKT2_21rocsparse_index_base_S6_S6_S8_S6_S6_S8_S6_PS9_PNS_15floating_traitsIS9_E6data_tEPKSG_
; %bb.0:
	s_load_dword s33, s[0:1], 0x0
	v_lshrrev_b32_e32 v1, 1, v0
	v_lshl_or_b32 v24, s2, 10, v1
	v_and_b32_e32 v22, 1, v0
	v_mov_b32_e32 v23, 0
	s_waitcnt lgkmcnt(0)
	v_cmp_gt_i32_e32 vcc, s33, v24
	s_and_saveexec_b64 s[6:7], vcc
	s_cbranch_execz .LBB39_47
; %bb.1:
	s_load_dword s52, s[0:1], 0x28
	s_load_dwordx8 s[8:15], s[0:1], 0x50
	s_load_dwordx8 s[16:23], s[0:1], 0x30
	;; [unrolled: 1-line block ×3, first 2 shown]
	v_mov_b32_e32 v23, 0
	s_waitcnt lgkmcnt(0)
	v_subrev_u32_e32 v25, s52, v22
	s_mov_b32 s2, 0
	s_mov_b64 s[34:35], -1
	s_mov_b32 s53, 0xf800000
	v_mov_b32_e32 v26, 0x260
	s_movk_i32 s54, 0x1f8
	s_mov_b32 s55, 0x7f800000
	s_branch .LBB39_5
.LBB39_2:                               ;   in Loop: Header=BB39_5 Depth=1
	s_or_b64 exec, exec, s[40:41]
.LBB39_3:                               ;   in Loop: Header=BB39_5 Depth=1
	s_or_b64 exec, exec, s[38:39]
.LBB39_4:                               ;   in Loop: Header=BB39_5 Depth=1
	s_or_b64 exec, exec, s[36:37]
	s_xor_b64 s[4:5], s[34:35], -1
	s_movk_i32 s2, 0x200
	s_andn2_b64 vcc, exec, s[4:5]
	s_mov_b64 s[34:35], 0
	s_cbranch_vccz .LBB39_47
.LBB39_5:                               ; =>This Loop Header: Depth=1
                                        ;     Child Loop BB39_9 Depth 2
                                        ;       Child Loop BB39_12 Depth 3
                                        ;       Child Loop BB39_20 Depth 3
                                        ;       Child Loop BB39_28 Depth 3
	v_or_b32_e32 v2, s2, v24
	v_cmp_gt_i32_e32 vcc, s33, v2
	s_and_saveexec_b64 s[36:37], vcc
	s_cbranch_execz .LBB39_4
; %bb.6:                                ;   in Loop: Header=BB39_5 Depth=1
	v_ashrrev_i32_e32 v3, 31, v2
	v_lshlrev_b64 v[6:7], 2, v[2:3]
	v_lshl_add_u64 v[4:5], s[26:27], 0, v[6:7]
	global_load_dword v3, v[4:5], off
	v_lshl_add_u64 v[4:5], s[24:25], 0, v[6:7]
	global_load_dword v4, v[4:5], off
	s_waitcnt vmcnt(1)
	v_subrev_u32_e32 v3, s52, v3
	s_waitcnt vmcnt(0)
	v_add_u32_e32 v4, v25, v4
	v_cmp_lt_i32_e32 vcc, v4, v3
	s_and_saveexec_b64 s[38:39], vcc
	s_cbranch_execz .LBB39_3
; %bb.7:                                ;   in Loop: Header=BB39_5 Depth=1
	v_lshl_add_u64 v[8:9], s[18:19], 0, v[6:7]
	v_lshl_add_u64 v[6:7], s[16:17], 0, v[6:7]
	global_load_dword v5, v[8:9], off
	s_mov_b64 s[40:41], 0
	global_load_dword v6, v[6:7], off
	s_waitcnt vmcnt(1)
	v_subrev_u32_e32 v27, s52, v5
	s_waitcnt vmcnt(0)
	v_subrev_u32_e32 v28, s52, v6
	v_cmp_lt_i32_e64 s[2:3], v6, v5
	s_branch .LBB39_9
.LBB39_8:                               ;   in Loop: Header=BB39_9 Depth=2
	s_or_b64 exec, exec, s[4:5]
	v_cmp_nlg_f32_e64 s[4:5], |v8|, s55
	v_cmp_gt_f32_e32 vcc, v23, v8
	v_add_u32_e32 v4, 2, v4
	s_or_b64 vcc, s[4:5], vcc
	v_cmp_ge_i32_e64 s[4:5], v4, v3
	s_or_b64 s[40:41], s[4:5], s[40:41]
	v_cndmask_b32_e32 v23, v8, v23, vcc
	s_andn2_b64 exec, exec, s[40:41]
	s_cbranch_execz .LBB39_2
.LBB39_9:                               ;   Parent Loop BB39_5 Depth=1
                                        ; =>  This Loop Header: Depth=2
                                        ;       Child Loop BB39_12 Depth 3
                                        ;       Child Loop BB39_20 Depth 3
                                        ;       Child Loop BB39_28 Depth 3
	v_ashrrev_i32_e32 v5, 31, v4
	v_lshl_add_u64 v[6:7], v[4:5], 2, s[28:29]
	global_load_dword v29, v[6:7], off
	v_mov_b32_e32 v19, 0
	v_mov_b32_e32 v18, v19
	s_waitcnt vmcnt(0)
	v_subrev_u32_e32 v8, s52, v29
	v_ashrrev_i32_e32 v9, 31, v8
	v_lshlrev_b64 v[6:7], 2, v[8:9]
	v_lshl_add_u64 v[10:11], s[18:19], 0, v[6:7]
	global_load_dword v9, v[10:11], off
	v_lshl_add_u64 v[10:11], s[8:9], 0, v[6:7]
	v_lshl_add_u64 v[6:7], s[22:23], 0, v[6:7]
	global_load_dword v13, v[6:7], off
	v_lshl_add_u64 v[6:7], v[4:5], 3, s[30:31]
	global_load_dwordx2 v[16:17], v[6:7], off
	global_load_dword v12, v[10:11], off
	s_waitcnt vmcnt(3)
	v_subrev_u32_e32 v6, s52, v9
	v_ashrrev_i32_e32 v7, 31, v6
	v_lshl_add_u64 v[6:7], v[6:7], 3, s[14:15]
	global_load_dwordx2 v[10:11], v[6:7], off
	s_waitcnt vmcnt(3)
	v_subrev_u32_e32 v14, s52, v13
	s_waitcnt vmcnt(1)
	v_cmp_lt_i32_e32 vcc, v13, v12
	v_subrev_u32_e32 v9, s52, v12
	s_and_b64 s[4:5], s[2:3], vcc
	v_mov_b32_e32 v12, v28
	s_and_saveexec_b64 s[42:43], s[4:5]
	s_cbranch_execz .LBB39_15
; %bb.10:                               ;   in Loop: Header=BB39_9 Depth=2
	v_mov_b32_e32 v18, 0
	s_mov_b64 s[44:45], 0
	v_mov_b32_e32 v12, v28
	v_mov_b32_e32 v19, v18
	s_branch .LBB39_12
.LBB39_11:                              ;   in Loop: Header=BB39_12 Depth=3
	s_or_b64 exec, exec, s[4:5]
	v_cmp_le_i32_e32 vcc, v6, v7
	s_nop 1
	v_addc_co_u32_e32 v12, vcc, 0, v12, vcc
	v_cmp_ge_i32_e32 vcc, v6, v7
	s_nop 1
	v_addc_co_u32_e32 v14, vcc, 0, v14, vcc
	v_cmp_ge_i32_e32 vcc, v12, v27
	v_cmp_ge_i32_e64 s[4:5], v14, v9
	s_or_b64 s[4:5], vcc, s[4:5]
	s_and_b64 s[4:5], exec, s[4:5]
	s_or_b64 s[44:45], s[4:5], s[44:45]
	s_andn2_b64 exec, exec, s[44:45]
	s_cbranch_execz .LBB39_14
.LBB39_12:                              ;   Parent Loop BB39_5 Depth=1
                                        ;     Parent Loop BB39_9 Depth=2
                                        ; =>    This Inner Loop Header: Depth=3
	v_ashrrev_i32_e32 v13, 31, v12
	v_ashrrev_i32_e32 v15, 31, v14
	v_lshl_add_u64 v[6:7], v[12:13], 2, s[20:21]
	v_lshl_add_u64 v[20:21], v[14:15], 2, s[10:11]
	global_load_dword v6, v[6:7], off
	s_nop 0
	global_load_dword v7, v[20:21], off
	s_waitcnt vmcnt(0)
	v_cmp_eq_u32_e32 vcc, v6, v7
	s_and_saveexec_b64 s[4:5], vcc
	s_cbranch_execz .LBB39_11
; %bb.13:                               ;   in Loop: Header=BB39_12 Depth=3
	v_lshl_add_u64 v[20:21], v[14:15], 2, s[12:13]
	global_load_dword v20, v[20:21], off
	v_lshl_add_u64 v[30:31], v[12:13], 3, s[14:15]
	global_load_dwordx2 v[30:31], v[30:31], off
	s_waitcnt vmcnt(1)
	v_ashrrev_i32_e32 v21, 31, v20
	v_lshl_add_u64 v[20:21], v[20:21], 3, s[14:15]
	global_load_dwordx2 v[20:21], v[20:21], off
	s_waitcnt vmcnt(1)
	v_xor_b32_e32 v32, 0x80000000, v31
	v_mov_b32_e32 v33, v30
	s_waitcnt vmcnt(0)
	v_pk_fma_f32 v[18:19], v[30:31], v[20:21], v[18:19] op_sel_hi:[1,0,1]
	s_nop 0
	v_pk_fma_f32 v[18:19], v[32:33], v[20:21], v[18:19] op_sel:[0,1,0]
	s_branch .LBB39_11
.LBB39_14:                              ;   in Loop: Header=BB39_9 Depth=2
	s_or_b64 exec, exec, s[44:45]
.LBB39_15:                              ;   in Loop: Header=BB39_9 Depth=2
	s_or_b64 exec, exec, s[42:43]
	v_pk_add_f32 v[6:7], v[16:17], v[18:19] neg_lo:[0,1] neg_hi:[0,1]
	v_cmp_gt_i32_e32 vcc, v2, v8
	s_and_saveexec_b64 s[4:5], vcc
	s_cbranch_execz .LBB39_17
; %bb.16:                               ;   in Loop: Header=BB39_9 Depth=2
	s_waitcnt vmcnt(0)
	v_mul_f32_e32 v13, v11, v11
	v_fmac_f32_e32 v13, v10, v10
	v_div_scale_f32 v15, s[42:43], v13, v13, 1.0
	v_rcp_f32_e32 v20, v15
	v_div_scale_f32 v21, vcc, 1.0, v13, 1.0
	v_mov_b32_e32 v32, v11
	v_fma_f32 v30, -v15, v20, 1.0
	v_fmac_f32_e32 v20, v30, v20
	v_mul_f32_e32 v30, v21, v20
	v_fma_f32 v31, -v15, v30, v21
	v_fmac_f32_e32 v30, v31, v20
	v_fma_f32 v15, -v15, v30, v21
	v_div_fmas_f32 v15, v15, v20, v30
	v_xor_b32_e32 v31, 0x80000000, v6
	v_mov_b32_e32 v30, v7
	v_pk_mul_f32 v[30:31], v[32:33], v[30:31] op_sel_hi:[0,1]
	v_div_fixup_f32 v20, v15, v13, 1.0
	v_pk_fma_f32 v[6:7], v[6:7], v[10:11], v[30:31] op_sel_hi:[1,0,1]
	s_nop 0
	v_pk_mul_f32 v[6:7], v[20:21], v[6:7] op_sel_hi:[0,1]
.LBB39_17:                              ;   in Loop: Header=BB39_9 Depth=2
	s_or_b64 exec, exec, s[4:5]
	v_pk_add_f32 v[16:17], v[18:19], v[16:17] neg_lo:[0,1] neg_hi:[0,1]
	v_cmp_lt_i32_e32 vcc, v14, v9
	s_and_saveexec_b64 s[4:5], vcc
	s_cbranch_execz .LBB39_25
; %bb.18:                               ;   in Loop: Header=BB39_9 Depth=2
	v_ashrrev_i32_e32 v15, 31, v14
	v_lshl_add_u64 v[18:19], v[14:15], 2, s[10:11]
	s_mov_b64 s[42:43], 0
                                        ; implicit-def: $sgpr44_sgpr45
                                        ; implicit-def: $sgpr48_sgpr49
                                        ; implicit-def: $sgpr46_sgpr47
	s_branch .LBB39_20
.LBB39_19:                              ;   in Loop: Header=BB39_20 Depth=3
	s_or_b64 exec, exec, s[50:51]
	s_and_b64 s[50:51], exec, s[48:49]
	s_or_b64 s[42:43], s[50:51], s[42:43]
	s_andn2_b64 s[44:45], s[44:45], exec
	s_and_b64 s[50:51], s[46:47], exec
	s_or_b64 s[44:45], s[44:45], s[50:51]
	s_andn2_b64 exec, exec, s[42:43]
	s_cbranch_execz .LBB39_22
.LBB39_20:                              ;   Parent Loop BB39_5 Depth=1
                                        ;     Parent Loop BB39_9 Depth=2
                                        ; =>    This Inner Loop Header: Depth=3
	global_load_dword v13, v[18:19], off
	v_mov_b64_e32 v[20:21], v[14:15]
	s_or_b64 s[46:47], s[46:47], exec
	s_or_b64 s[48:49], s[48:49], exec
                                        ; implicit-def: $vgpr14_vgpr15
	s_waitcnt vmcnt(0)
	v_subrev_u32_e32 v13, s52, v13
	v_cmp_ne_u32_e32 vcc, v13, v2
	s_and_saveexec_b64 s[50:51], vcc
	s_cbranch_execz .LBB39_19
; %bb.21:                               ;   in Loop: Header=BB39_20 Depth=3
	v_lshl_add_u64 v[14:15], v[20:21], 0, 1
	v_cmp_ge_i32_e32 vcc, v14, v9
	s_andn2_b64 s[48:49], s[48:49], exec
	s_and_b64 s[56:57], vcc, exec
	v_lshl_add_u64 v[18:19], v[18:19], 0, 4
	s_andn2_b64 s[46:47], s[46:47], exec
	s_or_b64 s[48:49], s[48:49], s[56:57]
	s_branch .LBB39_19
.LBB39_22:                              ;   in Loop: Header=BB39_9 Depth=2
	s_or_b64 exec, exec, s[42:43]
	s_and_saveexec_b64 s[42:43], s[44:45]
	s_xor_b64 s[42:43], exec, s[42:43]
	s_cbranch_execz .LBB39_24
; %bb.23:                               ;   in Loop: Header=BB39_9 Depth=2
	v_lshl_add_u64 v[14:15], v[20:21], 2, s[12:13]
	global_load_dword v14, v[14:15], off
	s_waitcnt vmcnt(0)
	v_ashrrev_i32_e32 v15, 31, v14
	v_lshl_add_u64 v[14:15], v[14:15], 3, s[14:15]
	global_load_dwordx2 v[14:15], v[14:15], off
	s_waitcnt vmcnt(0)
	v_pk_add_f32 v[16:17], v[16:17], v[14:15]
.LBB39_24:                              ;   in Loop: Header=BB39_9 Depth=2
	s_or_b64 exec, exec, s[42:43]
.LBB39_25:                              ;   in Loop: Header=BB39_9 Depth=2
	s_or_b64 exec, exec, s[4:5]
	v_cmp_lt_i32_e32 vcc, v12, v27
	s_and_saveexec_b64 s[4:5], vcc
	s_cbranch_execz .LBB39_33
; %bb.26:                               ;   in Loop: Header=BB39_9 Depth=2
	v_ashrrev_i32_e32 v13, 31, v12
	v_lshl_add_u64 v[14:15], v[12:13], 2, s[20:21]
	s_mov_b64 s[42:43], 0
                                        ; implicit-def: $sgpr44_sgpr45
                                        ; implicit-def: $sgpr48_sgpr49
                                        ; implicit-def: $sgpr46_sgpr47
	s_branch .LBB39_28
.LBB39_27:                              ;   in Loop: Header=BB39_28 Depth=3
	s_or_b64 exec, exec, s[50:51]
	s_and_b64 s[50:51], exec, s[48:49]
	s_or_b64 s[42:43], s[50:51], s[42:43]
	s_andn2_b64 s[44:45], s[44:45], exec
	s_and_b64 s[50:51], s[46:47], exec
	s_or_b64 s[44:45], s[44:45], s[50:51]
	s_andn2_b64 exec, exec, s[42:43]
	s_cbranch_execz .LBB39_30
.LBB39_28:                              ;   Parent Loop BB39_5 Depth=1
                                        ;     Parent Loop BB39_9 Depth=2
                                        ; =>    This Inner Loop Header: Depth=3
	global_load_dword v9, v[14:15], off
	v_mov_b64_e32 v[18:19], v[12:13]
	s_or_b64 s[46:47], s[46:47], exec
	s_or_b64 s[48:49], s[48:49], exec
                                        ; implicit-def: $vgpr12_vgpr13
	s_waitcnt vmcnt(0)
	v_cmp_ne_u32_e32 vcc, v9, v29
	s_and_saveexec_b64 s[50:51], vcc
	s_cbranch_execz .LBB39_27
; %bb.29:                               ;   in Loop: Header=BB39_28 Depth=3
	v_lshl_add_u64 v[12:13], v[18:19], 0, 1
	v_cmp_ge_i32_e32 vcc, v12, v27
	s_andn2_b64 s[48:49], s[48:49], exec
	s_and_b64 s[56:57], vcc, exec
	v_lshl_add_u64 v[14:15], v[14:15], 0, 4
	s_andn2_b64 s[46:47], s[46:47], exec
	s_or_b64 s[48:49], s[48:49], s[56:57]
	s_branch .LBB39_27
.LBB39_30:                              ;   in Loop: Header=BB39_9 Depth=2
	s_or_b64 exec, exec, s[42:43]
	s_and_saveexec_b64 s[42:43], s[44:45]
	s_xor_b64 s[42:43], exec, s[42:43]
	s_cbranch_execz .LBB39_32
; %bb.31:                               ;   in Loop: Header=BB39_9 Depth=2
	v_lshl_add_u64 v[12:13], v[18:19], 3, s[14:15]
	global_load_dwordx2 v[12:13], v[12:13], off
	s_waitcnt vmcnt(0)
	v_xor_b32_e32 v14, 0x80000000, v13
	v_pk_fma_f32 v[16:17], v[12:13], v[10:11], v[16:17] op_sel_hi:[1,0,1]
	v_mov_b32_e32 v15, v12
	v_mov_b32_e32 v12, v11
	v_pk_fma_f32 v[16:17], v[14:15], v[12:13], v[16:17] op_sel_hi:[1,0,1]
.LBB39_32:                              ;   in Loop: Header=BB39_9 Depth=2
	s_or_b64 exec, exec, s[42:43]
.LBB39_33:                              ;   in Loop: Header=BB39_9 Depth=2
	s_or_b64 exec, exec, s[4:5]
	s_waitcnt vmcnt(0)
	v_add_f32_e32 v9, v10, v16
	v_cmp_eq_u32_e32 vcc, v2, v8
	v_add_f32_e32 v10, v11, v17
	s_nop 0
	v_cndmask_b32_e32 v8, v16, v9, vcc
	v_cndmask_b32_e32 v11, v17, v10, vcc
	v_cmp_gt_f32_e32 vcc, 0, v8
	s_nop 1
	v_cndmask_b32_e64 v9, v8, -v8, vcc
	v_cmp_gt_f32_e32 vcc, 0, v11
                                        ; implicit-def: $vgpr8
	s_nop 1
	v_cndmask_b32_e64 v10, v11, -v11, vcc
	v_cmp_ngt_f32_e32 vcc, v9, v10
	s_and_saveexec_b64 s[4:5], vcc
	s_xor_b64 s[42:43], exec, s[4:5]
	s_cbranch_execz .LBB39_37
; %bb.34:                               ;   in Loop: Header=BB39_9 Depth=2
	v_mov_b32_e32 v8, 0
	v_cmp_neq_f32_e32 vcc, 0, v11
	s_and_saveexec_b64 s[44:45], vcc
	s_cbranch_execz .LBB39_36
; %bb.35:                               ;   in Loop: Header=BB39_9 Depth=2
	v_div_scale_f32 v8, s[4:5], v10, v10, v9
	v_rcp_f32_e32 v11, v8
	v_div_scale_f32 v12, vcc, v9, v10, v9
	v_fma_f32 v13, -v8, v11, 1.0
	v_fmac_f32_e32 v11, v13, v11
	v_mul_f32_e32 v13, v12, v11
	v_fma_f32 v14, -v8, v13, v12
	v_fmac_f32_e32 v13, v14, v11
	v_fma_f32 v8, -v8, v13, v12
	v_div_fmas_f32 v8, v8, v11, v13
	v_div_fixup_f32 v8, v8, v10, v9
	v_fma_f32 v8, v8, v8, 1.0
	v_mul_f32_e32 v9, 0x4f800000, v8
	v_cmp_gt_f32_e32 vcc, s53, v8
	s_nop 1
	v_cndmask_b32_e32 v8, v8, v9, vcc
	v_sqrt_f32_e32 v9, v8
	s_nop 0
	v_add_u32_e32 v11, -1, v9
	v_fma_f32 v12, -v11, v9, v8
	v_cmp_ge_f32_e64 s[4:5], 0, v12
	v_add_u32_e32 v12, 1, v9
	s_nop 0
	v_cndmask_b32_e64 v11, v9, v11, s[4:5]
	v_fma_f32 v9, -v12, v9, v8
	v_cmp_lt_f32_e64 s[4:5], 0, v9
	s_nop 1
	v_cndmask_b32_e64 v9, v11, v12, s[4:5]
	v_mul_f32_e32 v11, 0x37800000, v9
	v_cndmask_b32_e32 v9, v9, v11, vcc
	v_cmp_class_f32_e32 vcc, v8, v26
	s_nop 1
	v_cndmask_b32_e32 v8, v9, v8, vcc
	v_mul_f32_e32 v8, v10, v8
.LBB39_36:                              ;   in Loop: Header=BB39_9 Depth=2
	s_or_b64 exec, exec, s[44:45]
                                        ; implicit-def: $vgpr9
                                        ; implicit-def: $vgpr10
.LBB39_37:                              ;   in Loop: Header=BB39_9 Depth=2
	s_andn2_saveexec_b64 s[42:43], s[42:43]
	s_cbranch_execz .LBB39_39
; %bb.38:                               ;   in Loop: Header=BB39_9 Depth=2
	v_div_scale_f32 v8, s[4:5], v9, v9, v10
	v_rcp_f32_e32 v11, v8
	v_div_scale_f32 v12, vcc, v10, v9, v10
	v_fma_f32 v13, -v8, v11, 1.0
	v_fmac_f32_e32 v11, v13, v11
	v_mul_f32_e32 v13, v12, v11
	v_fma_f32 v14, -v8, v13, v12
	v_fmac_f32_e32 v13, v14, v11
	v_fma_f32 v8, -v8, v13, v12
	v_div_fmas_f32 v8, v8, v11, v13
	v_div_fixup_f32 v8, v8, v9, v10
	v_fma_f32 v8, v8, v8, 1.0
	v_mul_f32_e32 v10, 0x4f800000, v8
	v_cmp_gt_f32_e32 vcc, s53, v8
	s_nop 1
	v_cndmask_b32_e32 v8, v8, v10, vcc
	v_sqrt_f32_e32 v10, v8
	s_nop 0
	v_add_u32_e32 v11, -1, v10
	v_fma_f32 v12, -v11, v10, v8
	v_cmp_ge_f32_e64 s[4:5], 0, v12
	v_add_u32_e32 v12, 1, v10
	s_nop 0
	v_cndmask_b32_e64 v11, v10, v11, s[4:5]
	v_fma_f32 v10, -v12, v10, v8
	v_cmp_lt_f32_e64 s[4:5], 0, v10
	s_nop 1
	v_cndmask_b32_e64 v10, v11, v12, s[4:5]
	v_mul_f32_e32 v11, 0x37800000, v10
	v_cndmask_b32_e32 v10, v10, v11, vcc
	v_cmp_class_f32_e32 vcc, v8, v26
	s_nop 1
	v_cndmask_b32_e32 v8, v10, v8, vcc
	v_mul_f32_e32 v8, v9, v8
.LBB39_39:                              ;   in Loop: Header=BB39_9 Depth=2
	s_or_b64 exec, exec, s[42:43]
	v_cmp_gt_f32_e32 vcc, 0, v6
                                        ; implicit-def: $vgpr11
	s_nop 1
	v_cndmask_b32_e64 v9, v6, -v6, vcc
	v_cmp_gt_f32_e32 vcc, 0, v7
	s_nop 1
	v_cndmask_b32_e64 v10, v7, -v7, vcc
	v_cmp_ngt_f32_e32 vcc, v9, v10
	s_and_saveexec_b64 s[4:5], vcc
	s_xor_b64 s[42:43], exec, s[4:5]
	s_cbranch_execnz .LBB39_42
; %bb.40:                               ;   in Loop: Header=BB39_9 Depth=2
	s_andn2_saveexec_b64 s[42:43], s[42:43]
	s_cbranch_execnz .LBB39_45
.LBB39_41:                              ;   in Loop: Header=BB39_9 Depth=2
	s_or_b64 exec, exec, s[42:43]
	v_cmp_class_f32_e64 s[42:43], v11, s54
	s_and_saveexec_b64 s[4:5], s[42:43]
	s_cbranch_execz .LBB39_8
	s_branch .LBB39_46
.LBB39_42:                              ;   in Loop: Header=BB39_9 Depth=2
	v_mov_b32_e32 v11, 0
	v_cmp_neq_f32_e32 vcc, 0, v7
	s_and_saveexec_b64 s[44:45], vcc
	s_cbranch_execz .LBB39_44
; %bb.43:                               ;   in Loop: Header=BB39_9 Depth=2
	v_div_scale_f32 v11, s[4:5], v10, v10, v9
	v_rcp_f32_e32 v12, v11
	v_div_scale_f32 v13, vcc, v9, v10, v9
	v_fma_f32 v14, -v11, v12, 1.0
	v_fmac_f32_e32 v12, v14, v12
	v_mul_f32_e32 v14, v13, v12
	v_fma_f32 v15, -v11, v14, v13
	v_fmac_f32_e32 v14, v15, v12
	v_fma_f32 v11, -v11, v14, v13
	v_div_fmas_f32 v11, v11, v12, v14
	v_div_fixup_f32 v9, v11, v10, v9
	v_fma_f32 v9, v9, v9, 1.0
	v_mul_f32_e32 v11, 0x4f800000, v9
	v_cmp_gt_f32_e32 vcc, s53, v9
	s_nop 1
	v_cndmask_b32_e32 v9, v9, v11, vcc
	v_sqrt_f32_e32 v11, v9
	s_nop 0
	v_add_u32_e32 v12, -1, v11
	v_fma_f32 v13, -v12, v11, v9
	v_cmp_ge_f32_e64 s[4:5], 0, v13
	v_add_u32_e32 v13, 1, v11
	s_nop 0
	v_cndmask_b32_e64 v12, v11, v12, s[4:5]
	v_fma_f32 v11, -v13, v11, v9
	v_cmp_lt_f32_e64 s[4:5], 0, v11
	s_nop 1
	v_cndmask_b32_e64 v11, v12, v13, s[4:5]
	v_mul_f32_e32 v12, 0x37800000, v11
	v_cndmask_b32_e32 v11, v11, v12, vcc
	v_cmp_class_f32_e32 vcc, v9, v26
	s_nop 1
	v_cndmask_b32_e32 v9, v11, v9, vcc
	v_mul_f32_e32 v11, v10, v9
.LBB39_44:                              ;   in Loop: Header=BB39_9 Depth=2
	s_or_b64 exec, exec, s[44:45]
                                        ; implicit-def: $vgpr9
                                        ; implicit-def: $vgpr10
	s_andn2_saveexec_b64 s[42:43], s[42:43]
	s_cbranch_execz .LBB39_41
.LBB39_45:                              ;   in Loop: Header=BB39_9 Depth=2
	v_div_scale_f32 v11, s[4:5], v9, v9, v10
	v_rcp_f32_e32 v12, v11
	v_div_scale_f32 v13, vcc, v10, v9, v10
	v_fma_f32 v14, -v11, v12, 1.0
	v_fmac_f32_e32 v12, v14, v12
	v_mul_f32_e32 v14, v13, v12
	v_fma_f32 v15, -v11, v14, v13
	v_fmac_f32_e32 v14, v15, v12
	v_fma_f32 v11, -v11, v14, v13
	v_div_fmas_f32 v11, v11, v12, v14
	v_div_fixup_f32 v10, v11, v9, v10
	v_fma_f32 v10, v10, v10, 1.0
	v_mul_f32_e32 v11, 0x4f800000, v10
	v_cmp_gt_f32_e32 vcc, s53, v10
	s_nop 1
	v_cndmask_b32_e32 v10, v10, v11, vcc
	v_sqrt_f32_e32 v11, v10
	s_nop 0
	v_add_u32_e32 v12, -1, v11
	v_fma_f32 v13, -v12, v11, v10
	v_cmp_ge_f32_e64 s[4:5], 0, v13
	v_add_u32_e32 v13, 1, v11
	s_nop 0
	v_cndmask_b32_e64 v12, v11, v12, s[4:5]
	v_fma_f32 v11, -v13, v11, v10
	v_cmp_lt_f32_e64 s[4:5], 0, v11
	s_nop 1
	v_cndmask_b32_e64 v11, v12, v13, s[4:5]
	v_mul_f32_e32 v12, 0x37800000, v11
	v_cndmask_b32_e32 v11, v11, v12, vcc
	v_cmp_class_f32_e32 vcc, v10, v26
	s_nop 1
	v_cndmask_b32_e32 v10, v11, v10, vcc
	v_mul_f32_e32 v11, v9, v10
	s_or_b64 exec, exec, s[42:43]
	v_cmp_class_f32_e64 s[42:43], v11, s54
	s_and_saveexec_b64 s[4:5], s[42:43]
	s_cbranch_execz .LBB39_8
.LBB39_46:                              ;   in Loop: Header=BB39_9 Depth=2
	v_lshl_add_u64 v[10:11], v[4:5], 3, s[14:15]
	global_store_dwordx2 v[10:11], v[6:7], off
	s_branch .LBB39_8
.LBB39_47:
	s_or_b64 exec, exec, s[6:7]
	v_mov_b32_dpp v2, v23 row_shr:1 row_mask:0xf bank_mask:0xf
	v_cmp_ne_u32_e32 vcc, 0, v22
	s_and_saveexec_b64 s[2:3], vcc
; %bb.48:
	v_cmp_lt_f32_e32 vcc, v23, v2
	v_lshlrev_b32_e32 v1, 2, v1
	s_nop 0
	v_cndmask_b32_e32 v2, v23, v2, vcc
	ds_write_b32 v1, v2
; %bb.49:
	s_or_b64 exec, exec, s[2:3]
	s_movk_i32 s2, 0x100
	v_cmp_gt_u32_e32 vcc, s2, v0
	v_lshlrev_b32_e32 v1, 2, v0
	s_waitcnt lgkmcnt(0)
	s_barrier
	s_and_saveexec_b64 s[2:3], vcc
	s_cbranch_execz .LBB39_51
; %bb.50:
	ds_read2st64_b32 v[2:3], v1 offset1:4
	s_waitcnt lgkmcnt(0)
	v_cmp_lt_f32_e32 vcc, v2, v3
	s_nop 1
	v_cndmask_b32_e32 v2, v2, v3, vcc
	ds_write_b32 v1, v2
.LBB39_51:
	s_or_b64 exec, exec, s[2:3]
	s_movk_i32 s2, 0x80
	v_cmp_gt_u32_e32 vcc, s2, v0
	s_waitcnt lgkmcnt(0)
	s_barrier
	s_and_saveexec_b64 s[2:3], vcc
	s_cbranch_execz .LBB39_53
; %bb.52:
	ds_read2st64_b32 v[2:3], v1 offset1:2
	s_waitcnt lgkmcnt(0)
	v_cmp_lt_f32_e32 vcc, v2, v3
	s_nop 1
	v_cndmask_b32_e32 v2, v2, v3, vcc
	ds_write_b32 v1, v2
.LBB39_53:
	s_or_b64 exec, exec, s[2:3]
	v_cmp_gt_u32_e32 vcc, 64, v0
	s_waitcnt lgkmcnt(0)
	s_barrier
	s_and_saveexec_b64 s[2:3], vcc
	s_cbranch_execz .LBB39_55
; %bb.54:
	ds_read2st64_b32 v[2:3], v1 offset1:1
	s_waitcnt lgkmcnt(0)
	v_cmp_lt_f32_e32 vcc, v2, v3
	s_nop 1
	v_cndmask_b32_e32 v2, v2, v3, vcc
	ds_write_b32 v1, v2
.LBB39_55:
	s_or_b64 exec, exec, s[2:3]
	v_cmp_gt_u32_e32 vcc, 32, v0
	s_waitcnt lgkmcnt(0)
	s_barrier
	s_and_saveexec_b64 s[2:3], vcc
	s_cbranch_execz .LBB39_57
; %bb.56:
	ds_read2_b32 v[2:3], v1 offset1:32
	s_waitcnt lgkmcnt(0)
	v_cmp_lt_f32_e32 vcc, v2, v3
	s_nop 1
	v_cndmask_b32_e32 v2, v2, v3, vcc
	ds_write_b32 v1, v2
.LBB39_57:
	s_or_b64 exec, exec, s[2:3]
	v_cmp_gt_u32_e32 vcc, 16, v0
	s_waitcnt lgkmcnt(0)
	s_barrier
	s_and_saveexec_b64 s[2:3], vcc
	s_cbranch_execz .LBB39_59
; %bb.58:
	ds_read2_b32 v[2:3], v1 offset1:16
	s_waitcnt lgkmcnt(0)
	v_cmp_lt_f32_e32 vcc, v2, v3
	s_nop 1
	v_cndmask_b32_e32 v2, v2, v3, vcc
	ds_write_b32 v1, v2
.LBB39_59:
	;; [unrolled: 14-line block ×5, first 2 shown]
	s_or_b64 exec, exec, s[2:3]
	v_cmp_eq_u32_e32 vcc, 0, v0
	s_waitcnt lgkmcnt(0)
	s_barrier
	s_and_saveexec_b64 s[4:5], vcc
	s_cbranch_execz .LBB39_67
; %bb.66:
	v_mov_b32_e32 v2, 0
	ds_read_b64 v[0:1], v2
	s_waitcnt lgkmcnt(0)
	v_cmp_lt_f32_e64 s[2:3], v0, v1
	s_nop 1
	v_cndmask_b32_e64 v0, v0, v1, s[2:3]
	ds_write_b32 v2, v0
.LBB39_67:
	s_or_b64 exec, exec, s[4:5]
	s_waitcnt lgkmcnt(0)
	s_barrier
	s_and_saveexec_b64 s[2:3], vcc
	s_cbranch_execz .LBB39_71
; %bb.68:
	v_mbcnt_lo_u32_b32 v0, exec_lo, 0
	v_mbcnt_hi_u32_b32 v0, exec_hi, v0
	v_cmp_eq_u32_e32 vcc, 0, v0
	s_and_b64 exec, exec, vcc
	s_cbranch_execz .LBB39_71
; %bb.69:
	s_load_dwordx4 s[0:3], s[0:1], 0x70
	v_mov_b32_e32 v2, 0
	ds_read_b32 v0, v2
	s_waitcnt lgkmcnt(0)
	s_load_dword s6, s[2:3], 0x0
	s_mov_b64 s[2:3], 0
	s_waitcnt lgkmcnt(0)
	v_div_scale_f32 v1, s[4:5], s6, s6, v0
	v_rcp_f32_e32 v3, v1
	v_div_scale_f32 v4, vcc, v0, s6, v0
	s_load_dword s4, s[0:1], 0x0
	v_fma_f32 v5, -v1, v3, 1.0
	v_fmac_f32_e32 v3, v5, v3
	v_mul_f32_e32 v5, v4, v3
	v_fma_f32 v6, -v1, v5, v4
	v_fmac_f32_e32 v5, v6, v3
	v_fma_f32 v1, -v1, v5, v4
	v_div_fmas_f32 v1, v1, v3, v5
	v_div_fixup_f32 v0, v1, s6, v0
	s_waitcnt lgkmcnt(0)
	v_mov_b32_e32 v1, s4
	v_max_f32_e32 v3, v0, v0
.LBB39_70:                              ; =>This Inner Loop Header: Depth=1
	v_max_f32_e32 v0, v1, v1
	v_max_f32_e32 v0, v0, v3
	global_atomic_cmpswap v0, v2, v[0:1], s[0:1] sc0
	s_waitcnt vmcnt(0)
	v_cmp_eq_u32_e32 vcc, v0, v1
	s_or_b64 s[2:3], vcc, s[2:3]
	v_mov_b32_e32 v1, v0
	s_andn2_b64 exec, exec, s[2:3]
	s_cbranch_execnz .LBB39_70
.LBB39_71:
	s_endpgm
	.section	.rodata,"a",@progbits
	.p2align	6, 0x0
	.amdhsa_kernel _ZN9rocsparseL16kernel_calculateILi1024ELi2ELb1E21rocsparse_complex_numIfEiiEEvT4_T3_PKS4_S6_PKS3_PKT2_21rocsparse_index_base_S6_S6_S8_S6_S6_S8_S6_PS9_PNS_15floating_traitsIS9_E6data_tEPKSG_
		.amdhsa_group_segment_fixed_size 2048
		.amdhsa_private_segment_fixed_size 0
		.amdhsa_kernarg_size 128
		.amdhsa_user_sgpr_count 2
		.amdhsa_user_sgpr_dispatch_ptr 0
		.amdhsa_user_sgpr_queue_ptr 0
		.amdhsa_user_sgpr_kernarg_segment_ptr 1
		.amdhsa_user_sgpr_dispatch_id 0
		.amdhsa_user_sgpr_kernarg_preload_length 0
		.amdhsa_user_sgpr_kernarg_preload_offset 0
		.amdhsa_user_sgpr_private_segment_size 0
		.amdhsa_uses_dynamic_stack 0
		.amdhsa_enable_private_segment 0
		.amdhsa_system_sgpr_workgroup_id_x 1
		.amdhsa_system_sgpr_workgroup_id_y 0
		.amdhsa_system_sgpr_workgroup_id_z 0
		.amdhsa_system_sgpr_workgroup_info 0
		.amdhsa_system_vgpr_workitem_id 0
		.amdhsa_next_free_vgpr 34
		.amdhsa_next_free_sgpr 58
		.amdhsa_accum_offset 36
		.amdhsa_reserve_vcc 1
		.amdhsa_float_round_mode_32 0
		.amdhsa_float_round_mode_16_64 0
		.amdhsa_float_denorm_mode_32 3
		.amdhsa_float_denorm_mode_16_64 3
		.amdhsa_dx10_clamp 1
		.amdhsa_ieee_mode 1
		.amdhsa_fp16_overflow 0
		.amdhsa_tg_split 0
		.amdhsa_exception_fp_ieee_invalid_op 0
		.amdhsa_exception_fp_denorm_src 0
		.amdhsa_exception_fp_ieee_div_zero 0
		.amdhsa_exception_fp_ieee_overflow 0
		.amdhsa_exception_fp_ieee_underflow 0
		.amdhsa_exception_fp_ieee_inexact 0
		.amdhsa_exception_int_div_zero 0
	.end_amdhsa_kernel
	.section	.text._ZN9rocsparseL16kernel_calculateILi1024ELi2ELb1E21rocsparse_complex_numIfEiiEEvT4_T3_PKS4_S6_PKS3_PKT2_21rocsparse_index_base_S6_S6_S8_S6_S6_S8_S6_PS9_PNS_15floating_traitsIS9_E6data_tEPKSG_,"axG",@progbits,_ZN9rocsparseL16kernel_calculateILi1024ELi2ELb1E21rocsparse_complex_numIfEiiEEvT4_T3_PKS4_S6_PKS3_PKT2_21rocsparse_index_base_S6_S6_S8_S6_S6_S8_S6_PS9_PNS_15floating_traitsIS9_E6data_tEPKSG_,comdat
.Lfunc_end39:
	.size	_ZN9rocsparseL16kernel_calculateILi1024ELi2ELb1E21rocsparse_complex_numIfEiiEEvT4_T3_PKS4_S6_PKS3_PKT2_21rocsparse_index_base_S6_S6_S8_S6_S6_S8_S6_PS9_PNS_15floating_traitsIS9_E6data_tEPKSG_, .Lfunc_end39-_ZN9rocsparseL16kernel_calculateILi1024ELi2ELb1E21rocsparse_complex_numIfEiiEEvT4_T3_PKS4_S6_PKS3_PKT2_21rocsparse_index_base_S6_S6_S8_S6_S6_S8_S6_PS9_PNS_15floating_traitsIS9_E6data_tEPKSG_
                                        ; -- End function
	.set _ZN9rocsparseL16kernel_calculateILi1024ELi2ELb1E21rocsparse_complex_numIfEiiEEvT4_T3_PKS4_S6_PKS3_PKT2_21rocsparse_index_base_S6_S6_S8_S6_S6_S8_S6_PS9_PNS_15floating_traitsIS9_E6data_tEPKSG_.num_vgpr, 34
	.set _ZN9rocsparseL16kernel_calculateILi1024ELi2ELb1E21rocsparse_complex_numIfEiiEEvT4_T3_PKS4_S6_PKS3_PKT2_21rocsparse_index_base_S6_S6_S8_S6_S6_S8_S6_PS9_PNS_15floating_traitsIS9_E6data_tEPKSG_.num_agpr, 0
	.set _ZN9rocsparseL16kernel_calculateILi1024ELi2ELb1E21rocsparse_complex_numIfEiiEEvT4_T3_PKS4_S6_PKS3_PKT2_21rocsparse_index_base_S6_S6_S8_S6_S6_S8_S6_PS9_PNS_15floating_traitsIS9_E6data_tEPKSG_.numbered_sgpr, 58
	.set _ZN9rocsparseL16kernel_calculateILi1024ELi2ELb1E21rocsparse_complex_numIfEiiEEvT4_T3_PKS4_S6_PKS3_PKT2_21rocsparse_index_base_S6_S6_S8_S6_S6_S8_S6_PS9_PNS_15floating_traitsIS9_E6data_tEPKSG_.num_named_barrier, 0
	.set _ZN9rocsparseL16kernel_calculateILi1024ELi2ELb1E21rocsparse_complex_numIfEiiEEvT4_T3_PKS4_S6_PKS3_PKT2_21rocsparse_index_base_S6_S6_S8_S6_S6_S8_S6_PS9_PNS_15floating_traitsIS9_E6data_tEPKSG_.private_seg_size, 0
	.set _ZN9rocsparseL16kernel_calculateILi1024ELi2ELb1E21rocsparse_complex_numIfEiiEEvT4_T3_PKS4_S6_PKS3_PKT2_21rocsparse_index_base_S6_S6_S8_S6_S6_S8_S6_PS9_PNS_15floating_traitsIS9_E6data_tEPKSG_.uses_vcc, 1
	.set _ZN9rocsparseL16kernel_calculateILi1024ELi2ELb1E21rocsparse_complex_numIfEiiEEvT4_T3_PKS4_S6_PKS3_PKT2_21rocsparse_index_base_S6_S6_S8_S6_S6_S8_S6_PS9_PNS_15floating_traitsIS9_E6data_tEPKSG_.uses_flat_scratch, 0
	.set _ZN9rocsparseL16kernel_calculateILi1024ELi2ELb1E21rocsparse_complex_numIfEiiEEvT4_T3_PKS4_S6_PKS3_PKT2_21rocsparse_index_base_S6_S6_S8_S6_S6_S8_S6_PS9_PNS_15floating_traitsIS9_E6data_tEPKSG_.has_dyn_sized_stack, 0
	.set _ZN9rocsparseL16kernel_calculateILi1024ELi2ELb1E21rocsparse_complex_numIfEiiEEvT4_T3_PKS4_S6_PKS3_PKT2_21rocsparse_index_base_S6_S6_S8_S6_S6_S8_S6_PS9_PNS_15floating_traitsIS9_E6data_tEPKSG_.has_recursion, 0
	.set _ZN9rocsparseL16kernel_calculateILi1024ELi2ELb1E21rocsparse_complex_numIfEiiEEvT4_T3_PKS4_S6_PKS3_PKT2_21rocsparse_index_base_S6_S6_S8_S6_S6_S8_S6_PS9_PNS_15floating_traitsIS9_E6data_tEPKSG_.has_indirect_call, 0
	.section	.AMDGPU.csdata,"",@progbits
; Kernel info:
; codeLenInByte = 3232
; TotalNumSgprs: 64
; NumVgprs: 34
; NumAgprs: 0
; TotalNumVgprs: 34
; ScratchSize: 0
; MemoryBound: 0
; FloatMode: 240
; IeeeMode: 1
; LDSByteSize: 2048 bytes/workgroup (compile time only)
; SGPRBlocks: 7
; VGPRBlocks: 4
; NumSGPRsForWavesPerEU: 64
; NumVGPRsForWavesPerEU: 34
; AccumOffset: 36
; Occupancy: 8
; WaveLimiterHint : 1
; COMPUTE_PGM_RSRC2:SCRATCH_EN: 0
; COMPUTE_PGM_RSRC2:USER_SGPR: 2
; COMPUTE_PGM_RSRC2:TRAP_HANDLER: 0
; COMPUTE_PGM_RSRC2:TGID_X_EN: 1
; COMPUTE_PGM_RSRC2:TGID_Y_EN: 0
; COMPUTE_PGM_RSRC2:TGID_Z_EN: 0
; COMPUTE_PGM_RSRC2:TIDIG_COMP_CNT: 0
; COMPUTE_PGM_RSRC3_GFX90A:ACCUM_OFFSET: 8
; COMPUTE_PGM_RSRC3_GFX90A:TG_SPLIT: 0
	.section	.text._ZN9rocsparseL16kernel_calculateILi1024ELi4ELb1E21rocsparse_complex_numIfEiiEEvT4_T3_PKS4_S6_PKS3_PKT2_21rocsparse_index_base_S6_S6_S8_S6_S6_S8_S6_PS9_PNS_15floating_traitsIS9_E6data_tEPKSG_,"axG",@progbits,_ZN9rocsparseL16kernel_calculateILi1024ELi4ELb1E21rocsparse_complex_numIfEiiEEvT4_T3_PKS4_S6_PKS3_PKT2_21rocsparse_index_base_S6_S6_S8_S6_S6_S8_S6_PS9_PNS_15floating_traitsIS9_E6data_tEPKSG_,comdat
	.globl	_ZN9rocsparseL16kernel_calculateILi1024ELi4ELb1E21rocsparse_complex_numIfEiiEEvT4_T3_PKS4_S6_PKS3_PKT2_21rocsparse_index_base_S6_S6_S8_S6_S6_S8_S6_PS9_PNS_15floating_traitsIS9_E6data_tEPKSG_ ; -- Begin function _ZN9rocsparseL16kernel_calculateILi1024ELi4ELb1E21rocsparse_complex_numIfEiiEEvT4_T3_PKS4_S6_PKS3_PKT2_21rocsparse_index_base_S6_S6_S8_S6_S6_S8_S6_PS9_PNS_15floating_traitsIS9_E6data_tEPKSG_
	.p2align	8
	.type	_ZN9rocsparseL16kernel_calculateILi1024ELi4ELb1E21rocsparse_complex_numIfEiiEEvT4_T3_PKS4_S6_PKS3_PKT2_21rocsparse_index_base_S6_S6_S8_S6_S6_S8_S6_PS9_PNS_15floating_traitsIS9_E6data_tEPKSG_,@function
_ZN9rocsparseL16kernel_calculateILi1024ELi4ELb1E21rocsparse_complex_numIfEiiEEvT4_T3_PKS4_S6_PKS3_PKT2_21rocsparse_index_base_S6_S6_S8_S6_S6_S8_S6_PS9_PNS_15floating_traitsIS9_E6data_tEPKSG_: ; @_ZN9rocsparseL16kernel_calculateILi1024ELi4ELb1E21rocsparse_complex_numIfEiiEEvT4_T3_PKS4_S6_PKS3_PKT2_21rocsparse_index_base_S6_S6_S8_S6_S6_S8_S6_PS9_PNS_15floating_traitsIS9_E6data_tEPKSG_
; %bb.0:
	s_load_dword s33, s[0:1], 0x0
	v_lshrrev_b32_e32 v1, 2, v0
	v_lshl_or_b32 v23, s2, 10, v1
	v_and_b32_e32 v22, 3, v0
	v_mov_b32_e32 v24, 0
	s_waitcnt lgkmcnt(0)
	v_cmp_gt_i32_e32 vcc, s33, v23
	s_and_saveexec_b64 s[6:7], vcc
	s_cbranch_execz .LBB40_47
; %bb.1:
	s_load_dword s50, s[0:1], 0x28
	s_load_dwordx8 s[8:15], s[0:1], 0x50
	s_load_dwordx8 s[16:23], s[0:1], 0x30
	;; [unrolled: 1-line block ×3, first 2 shown]
	v_mov_b32_e32 v24, 0
	s_waitcnt lgkmcnt(0)
	v_subrev_u32_e32 v25, s50, v22
	s_mov_b32 s51, 0
	s_mov_b32 s52, 0xf800000
	v_mov_b32_e32 v26, 0x260
	s_movk_i32 s53, 0x1f8
	s_mov_b32 s54, 0x7f800000
	s_branch .LBB40_5
.LBB40_2:                               ;   in Loop: Header=BB40_5 Depth=1
	s_or_b64 exec, exec, s[38:39]
.LBB40_3:                               ;   in Loop: Header=BB40_5 Depth=1
	s_or_b64 exec, exec, s[36:37]
.LBB40_4:                               ;   in Loop: Header=BB40_5 Depth=1
	s_or_b64 exec, exec, s[34:35]
	s_add_i32 s51, s51, 1
	s_cmp_lg_u32 s51, 4
	s_cbranch_scc0 .LBB40_47
.LBB40_5:                               ; =>This Loop Header: Depth=1
                                        ;     Child Loop BB40_9 Depth 2
                                        ;       Child Loop BB40_12 Depth 3
                                        ;       Child Loop BB40_20 Depth 3
	;; [unrolled: 1-line block ×3, first 2 shown]
	v_lshl_add_u32 v2, s51, 8, v23
	v_cmp_gt_i32_e32 vcc, s33, v2
	s_and_saveexec_b64 s[34:35], vcc
	s_cbranch_execz .LBB40_4
; %bb.6:                                ;   in Loop: Header=BB40_5 Depth=1
	v_ashrrev_i32_e32 v3, 31, v2
	v_lshlrev_b64 v[6:7], 2, v[2:3]
	v_lshl_add_u64 v[4:5], s[26:27], 0, v[6:7]
	global_load_dword v3, v[4:5], off
	v_lshl_add_u64 v[4:5], s[24:25], 0, v[6:7]
	global_load_dword v4, v[4:5], off
	s_waitcnt vmcnt(1)
	v_subrev_u32_e32 v3, s50, v3
	s_waitcnt vmcnt(0)
	v_add_u32_e32 v4, v25, v4
	v_cmp_lt_i32_e32 vcc, v4, v3
	s_and_saveexec_b64 s[36:37], vcc
	s_cbranch_execz .LBB40_3
; %bb.7:                                ;   in Loop: Header=BB40_5 Depth=1
	v_lshl_add_u64 v[8:9], s[18:19], 0, v[6:7]
	v_lshl_add_u64 v[6:7], s[16:17], 0, v[6:7]
	global_load_dword v5, v[8:9], off
	s_mov_b64 s[38:39], 0
	global_load_dword v6, v[6:7], off
	s_waitcnt vmcnt(1)
	v_subrev_u32_e32 v27, s50, v5
	s_waitcnt vmcnt(0)
	v_subrev_u32_e32 v28, s50, v6
	v_cmp_lt_i32_e64 s[2:3], v6, v5
	s_branch .LBB40_9
.LBB40_8:                               ;   in Loop: Header=BB40_9 Depth=2
	s_or_b64 exec, exec, s[4:5]
	v_cmp_nlg_f32_e64 s[4:5], |v8|, s54
	v_cmp_gt_f32_e32 vcc, v24, v8
	v_add_u32_e32 v4, 4, v4
	s_or_b64 vcc, s[4:5], vcc
	v_cmp_ge_i32_e64 s[4:5], v4, v3
	s_or_b64 s[38:39], s[4:5], s[38:39]
	v_cndmask_b32_e32 v24, v8, v24, vcc
	s_andn2_b64 exec, exec, s[38:39]
	s_cbranch_execz .LBB40_2
.LBB40_9:                               ;   Parent Loop BB40_5 Depth=1
                                        ; =>  This Loop Header: Depth=2
                                        ;       Child Loop BB40_12 Depth 3
                                        ;       Child Loop BB40_20 Depth 3
	;; [unrolled: 1-line block ×3, first 2 shown]
	v_ashrrev_i32_e32 v5, 31, v4
	v_lshl_add_u64 v[6:7], v[4:5], 2, s[28:29]
	global_load_dword v29, v[6:7], off
	v_mov_b32_e32 v19, 0
	v_mov_b32_e32 v18, v19
	s_waitcnt vmcnt(0)
	v_subrev_u32_e32 v8, s50, v29
	v_ashrrev_i32_e32 v9, 31, v8
	v_lshlrev_b64 v[6:7], 2, v[8:9]
	v_lshl_add_u64 v[10:11], s[18:19], 0, v[6:7]
	global_load_dword v9, v[10:11], off
	v_lshl_add_u64 v[10:11], s[8:9], 0, v[6:7]
	v_lshl_add_u64 v[6:7], s[22:23], 0, v[6:7]
	global_load_dword v13, v[6:7], off
	v_lshl_add_u64 v[6:7], v[4:5], 3, s[30:31]
	global_load_dwordx2 v[16:17], v[6:7], off
	global_load_dword v12, v[10:11], off
	s_waitcnt vmcnt(3)
	v_subrev_u32_e32 v6, s50, v9
	v_ashrrev_i32_e32 v7, 31, v6
	v_lshl_add_u64 v[6:7], v[6:7], 3, s[14:15]
	global_load_dwordx2 v[10:11], v[6:7], off
	s_waitcnt vmcnt(3)
	v_subrev_u32_e32 v14, s50, v13
	s_waitcnt vmcnt(1)
	v_cmp_lt_i32_e32 vcc, v13, v12
	v_subrev_u32_e32 v9, s50, v12
	s_and_b64 s[4:5], s[2:3], vcc
	v_mov_b32_e32 v12, v28
	s_and_saveexec_b64 s[40:41], s[4:5]
	s_cbranch_execz .LBB40_15
; %bb.10:                               ;   in Loop: Header=BB40_9 Depth=2
	v_mov_b32_e32 v18, 0
	s_mov_b64 s[42:43], 0
	v_mov_b32_e32 v12, v28
	v_mov_b32_e32 v19, v18
	s_branch .LBB40_12
.LBB40_11:                              ;   in Loop: Header=BB40_12 Depth=3
	s_or_b64 exec, exec, s[4:5]
	v_cmp_le_i32_e32 vcc, v6, v7
	s_nop 1
	v_addc_co_u32_e32 v12, vcc, 0, v12, vcc
	v_cmp_ge_i32_e32 vcc, v6, v7
	s_nop 1
	v_addc_co_u32_e32 v14, vcc, 0, v14, vcc
	v_cmp_ge_i32_e32 vcc, v12, v27
	v_cmp_ge_i32_e64 s[4:5], v14, v9
	s_or_b64 s[4:5], vcc, s[4:5]
	s_and_b64 s[4:5], exec, s[4:5]
	s_or_b64 s[42:43], s[4:5], s[42:43]
	s_andn2_b64 exec, exec, s[42:43]
	s_cbranch_execz .LBB40_14
.LBB40_12:                              ;   Parent Loop BB40_5 Depth=1
                                        ;     Parent Loop BB40_9 Depth=2
                                        ; =>    This Inner Loop Header: Depth=3
	v_ashrrev_i32_e32 v13, 31, v12
	v_ashrrev_i32_e32 v15, 31, v14
	v_lshl_add_u64 v[6:7], v[12:13], 2, s[20:21]
	v_lshl_add_u64 v[20:21], v[14:15], 2, s[10:11]
	global_load_dword v6, v[6:7], off
	s_nop 0
	global_load_dword v7, v[20:21], off
	s_waitcnt vmcnt(0)
	v_cmp_eq_u32_e32 vcc, v6, v7
	s_and_saveexec_b64 s[4:5], vcc
	s_cbranch_execz .LBB40_11
; %bb.13:                               ;   in Loop: Header=BB40_12 Depth=3
	v_lshl_add_u64 v[20:21], v[14:15], 2, s[12:13]
	global_load_dword v20, v[20:21], off
	v_lshl_add_u64 v[30:31], v[12:13], 3, s[14:15]
	global_load_dwordx2 v[30:31], v[30:31], off
	s_waitcnt vmcnt(1)
	v_ashrrev_i32_e32 v21, 31, v20
	v_lshl_add_u64 v[20:21], v[20:21], 3, s[14:15]
	global_load_dwordx2 v[20:21], v[20:21], off
	s_waitcnt vmcnt(1)
	v_xor_b32_e32 v32, 0x80000000, v31
	v_mov_b32_e32 v33, v30
	s_waitcnt vmcnt(0)
	v_pk_fma_f32 v[18:19], v[30:31], v[20:21], v[18:19] op_sel_hi:[1,0,1]
	s_nop 0
	v_pk_fma_f32 v[18:19], v[32:33], v[20:21], v[18:19] op_sel:[0,1,0]
	s_branch .LBB40_11
.LBB40_14:                              ;   in Loop: Header=BB40_9 Depth=2
	s_or_b64 exec, exec, s[42:43]
.LBB40_15:                              ;   in Loop: Header=BB40_9 Depth=2
	s_or_b64 exec, exec, s[40:41]
	v_pk_add_f32 v[6:7], v[16:17], v[18:19] neg_lo:[0,1] neg_hi:[0,1]
	v_cmp_gt_i32_e32 vcc, v2, v8
	s_and_saveexec_b64 s[4:5], vcc
	s_cbranch_execz .LBB40_17
; %bb.16:                               ;   in Loop: Header=BB40_9 Depth=2
	s_waitcnt vmcnt(0)
	v_mul_f32_e32 v13, v11, v11
	v_fmac_f32_e32 v13, v10, v10
	v_div_scale_f32 v15, s[40:41], v13, v13, 1.0
	v_rcp_f32_e32 v20, v15
	v_div_scale_f32 v21, vcc, 1.0, v13, 1.0
	v_mov_b32_e32 v32, v11
	v_fma_f32 v30, -v15, v20, 1.0
	v_fmac_f32_e32 v20, v30, v20
	v_mul_f32_e32 v30, v21, v20
	v_fma_f32 v31, -v15, v30, v21
	v_fmac_f32_e32 v30, v31, v20
	v_fma_f32 v15, -v15, v30, v21
	v_div_fmas_f32 v15, v15, v20, v30
	v_xor_b32_e32 v31, 0x80000000, v6
	v_mov_b32_e32 v30, v7
	v_pk_mul_f32 v[30:31], v[32:33], v[30:31] op_sel_hi:[0,1]
	v_div_fixup_f32 v20, v15, v13, 1.0
	v_pk_fma_f32 v[6:7], v[6:7], v[10:11], v[30:31] op_sel_hi:[1,0,1]
	s_nop 0
	v_pk_mul_f32 v[6:7], v[20:21], v[6:7] op_sel_hi:[0,1]
.LBB40_17:                              ;   in Loop: Header=BB40_9 Depth=2
	s_or_b64 exec, exec, s[4:5]
	v_pk_add_f32 v[16:17], v[18:19], v[16:17] neg_lo:[0,1] neg_hi:[0,1]
	v_cmp_lt_i32_e32 vcc, v14, v9
	s_and_saveexec_b64 s[4:5], vcc
	s_cbranch_execz .LBB40_25
; %bb.18:                               ;   in Loop: Header=BB40_9 Depth=2
	v_ashrrev_i32_e32 v15, 31, v14
	v_lshl_add_u64 v[18:19], v[14:15], 2, s[10:11]
	s_mov_b64 s[40:41], 0
                                        ; implicit-def: $sgpr42_sgpr43
                                        ; implicit-def: $sgpr46_sgpr47
                                        ; implicit-def: $sgpr44_sgpr45
	s_branch .LBB40_20
.LBB40_19:                              ;   in Loop: Header=BB40_20 Depth=3
	s_or_b64 exec, exec, s[48:49]
	s_and_b64 s[48:49], exec, s[46:47]
	s_or_b64 s[40:41], s[48:49], s[40:41]
	s_andn2_b64 s[42:43], s[42:43], exec
	s_and_b64 s[48:49], s[44:45], exec
	s_or_b64 s[42:43], s[42:43], s[48:49]
	s_andn2_b64 exec, exec, s[40:41]
	s_cbranch_execz .LBB40_22
.LBB40_20:                              ;   Parent Loop BB40_5 Depth=1
                                        ;     Parent Loop BB40_9 Depth=2
                                        ; =>    This Inner Loop Header: Depth=3
	global_load_dword v13, v[18:19], off
	v_mov_b64_e32 v[20:21], v[14:15]
	s_or_b64 s[44:45], s[44:45], exec
	s_or_b64 s[46:47], s[46:47], exec
                                        ; implicit-def: $vgpr14_vgpr15
	s_waitcnt vmcnt(0)
	v_subrev_u32_e32 v13, s50, v13
	v_cmp_ne_u32_e32 vcc, v13, v2
	s_and_saveexec_b64 s[48:49], vcc
	s_cbranch_execz .LBB40_19
; %bb.21:                               ;   in Loop: Header=BB40_20 Depth=3
	v_lshl_add_u64 v[14:15], v[20:21], 0, 1
	v_cmp_ge_i32_e32 vcc, v14, v9
	s_andn2_b64 s[46:47], s[46:47], exec
	s_and_b64 s[56:57], vcc, exec
	v_lshl_add_u64 v[18:19], v[18:19], 0, 4
	s_andn2_b64 s[44:45], s[44:45], exec
	s_or_b64 s[46:47], s[46:47], s[56:57]
	s_branch .LBB40_19
.LBB40_22:                              ;   in Loop: Header=BB40_9 Depth=2
	s_or_b64 exec, exec, s[40:41]
	s_and_saveexec_b64 s[40:41], s[42:43]
	s_xor_b64 s[40:41], exec, s[40:41]
	s_cbranch_execz .LBB40_24
; %bb.23:                               ;   in Loop: Header=BB40_9 Depth=2
	v_lshl_add_u64 v[14:15], v[20:21], 2, s[12:13]
	global_load_dword v14, v[14:15], off
	s_waitcnt vmcnt(0)
	v_ashrrev_i32_e32 v15, 31, v14
	v_lshl_add_u64 v[14:15], v[14:15], 3, s[14:15]
	global_load_dwordx2 v[14:15], v[14:15], off
	s_waitcnt vmcnt(0)
	v_pk_add_f32 v[16:17], v[16:17], v[14:15]
.LBB40_24:                              ;   in Loop: Header=BB40_9 Depth=2
	s_or_b64 exec, exec, s[40:41]
.LBB40_25:                              ;   in Loop: Header=BB40_9 Depth=2
	s_or_b64 exec, exec, s[4:5]
	v_cmp_lt_i32_e32 vcc, v12, v27
	s_and_saveexec_b64 s[4:5], vcc
	s_cbranch_execz .LBB40_33
; %bb.26:                               ;   in Loop: Header=BB40_9 Depth=2
	v_ashrrev_i32_e32 v13, 31, v12
	v_lshl_add_u64 v[14:15], v[12:13], 2, s[20:21]
	s_mov_b64 s[40:41], 0
                                        ; implicit-def: $sgpr42_sgpr43
                                        ; implicit-def: $sgpr46_sgpr47
                                        ; implicit-def: $sgpr44_sgpr45
	s_branch .LBB40_28
.LBB40_27:                              ;   in Loop: Header=BB40_28 Depth=3
	s_or_b64 exec, exec, s[48:49]
	s_and_b64 s[48:49], exec, s[46:47]
	s_or_b64 s[40:41], s[48:49], s[40:41]
	s_andn2_b64 s[42:43], s[42:43], exec
	s_and_b64 s[48:49], s[44:45], exec
	s_or_b64 s[42:43], s[42:43], s[48:49]
	s_andn2_b64 exec, exec, s[40:41]
	s_cbranch_execz .LBB40_30
.LBB40_28:                              ;   Parent Loop BB40_5 Depth=1
                                        ;     Parent Loop BB40_9 Depth=2
                                        ; =>    This Inner Loop Header: Depth=3
	global_load_dword v9, v[14:15], off
	v_mov_b64_e32 v[18:19], v[12:13]
	s_or_b64 s[44:45], s[44:45], exec
	s_or_b64 s[46:47], s[46:47], exec
                                        ; implicit-def: $vgpr12_vgpr13
	s_waitcnt vmcnt(0)
	v_cmp_ne_u32_e32 vcc, v9, v29
	s_and_saveexec_b64 s[48:49], vcc
	s_cbranch_execz .LBB40_27
; %bb.29:                               ;   in Loop: Header=BB40_28 Depth=3
	v_lshl_add_u64 v[12:13], v[18:19], 0, 1
	v_cmp_ge_i32_e32 vcc, v12, v27
	s_andn2_b64 s[46:47], s[46:47], exec
	s_and_b64 s[56:57], vcc, exec
	v_lshl_add_u64 v[14:15], v[14:15], 0, 4
	s_andn2_b64 s[44:45], s[44:45], exec
	s_or_b64 s[46:47], s[46:47], s[56:57]
	s_branch .LBB40_27
.LBB40_30:                              ;   in Loop: Header=BB40_9 Depth=2
	s_or_b64 exec, exec, s[40:41]
	s_and_saveexec_b64 s[40:41], s[42:43]
	s_xor_b64 s[40:41], exec, s[40:41]
	s_cbranch_execz .LBB40_32
; %bb.31:                               ;   in Loop: Header=BB40_9 Depth=2
	v_lshl_add_u64 v[12:13], v[18:19], 3, s[14:15]
	global_load_dwordx2 v[12:13], v[12:13], off
	s_waitcnt vmcnt(0)
	v_xor_b32_e32 v14, 0x80000000, v13
	v_pk_fma_f32 v[16:17], v[12:13], v[10:11], v[16:17] op_sel_hi:[1,0,1]
	v_mov_b32_e32 v15, v12
	v_mov_b32_e32 v12, v11
	v_pk_fma_f32 v[16:17], v[14:15], v[12:13], v[16:17] op_sel_hi:[1,0,1]
.LBB40_32:                              ;   in Loop: Header=BB40_9 Depth=2
	s_or_b64 exec, exec, s[40:41]
.LBB40_33:                              ;   in Loop: Header=BB40_9 Depth=2
	s_or_b64 exec, exec, s[4:5]
	s_waitcnt vmcnt(0)
	v_add_f32_e32 v9, v10, v16
	v_cmp_eq_u32_e32 vcc, v2, v8
	v_add_f32_e32 v10, v11, v17
	s_nop 0
	v_cndmask_b32_e32 v8, v16, v9, vcc
	v_cndmask_b32_e32 v11, v17, v10, vcc
	v_cmp_gt_f32_e32 vcc, 0, v8
	s_nop 1
	v_cndmask_b32_e64 v9, v8, -v8, vcc
	v_cmp_gt_f32_e32 vcc, 0, v11
                                        ; implicit-def: $vgpr8
	s_nop 1
	v_cndmask_b32_e64 v10, v11, -v11, vcc
	v_cmp_ngt_f32_e32 vcc, v9, v10
	s_and_saveexec_b64 s[4:5], vcc
	s_xor_b64 s[40:41], exec, s[4:5]
	s_cbranch_execz .LBB40_37
; %bb.34:                               ;   in Loop: Header=BB40_9 Depth=2
	v_mov_b32_e32 v8, 0
	v_cmp_neq_f32_e32 vcc, 0, v11
	s_and_saveexec_b64 s[42:43], vcc
	s_cbranch_execz .LBB40_36
; %bb.35:                               ;   in Loop: Header=BB40_9 Depth=2
	v_div_scale_f32 v8, s[4:5], v10, v10, v9
	v_rcp_f32_e32 v11, v8
	v_div_scale_f32 v12, vcc, v9, v10, v9
	v_fma_f32 v13, -v8, v11, 1.0
	v_fmac_f32_e32 v11, v13, v11
	v_mul_f32_e32 v13, v12, v11
	v_fma_f32 v14, -v8, v13, v12
	v_fmac_f32_e32 v13, v14, v11
	v_fma_f32 v8, -v8, v13, v12
	v_div_fmas_f32 v8, v8, v11, v13
	v_div_fixup_f32 v8, v8, v10, v9
	v_fma_f32 v8, v8, v8, 1.0
	v_mul_f32_e32 v9, 0x4f800000, v8
	v_cmp_gt_f32_e32 vcc, s52, v8
	s_nop 1
	v_cndmask_b32_e32 v8, v8, v9, vcc
	v_sqrt_f32_e32 v9, v8
	s_nop 0
	v_add_u32_e32 v11, -1, v9
	v_fma_f32 v12, -v11, v9, v8
	v_cmp_ge_f32_e64 s[4:5], 0, v12
	v_add_u32_e32 v12, 1, v9
	s_nop 0
	v_cndmask_b32_e64 v11, v9, v11, s[4:5]
	v_fma_f32 v9, -v12, v9, v8
	v_cmp_lt_f32_e64 s[4:5], 0, v9
	s_nop 1
	v_cndmask_b32_e64 v9, v11, v12, s[4:5]
	v_mul_f32_e32 v11, 0x37800000, v9
	v_cndmask_b32_e32 v9, v9, v11, vcc
	v_cmp_class_f32_e32 vcc, v8, v26
	s_nop 1
	v_cndmask_b32_e32 v8, v9, v8, vcc
	v_mul_f32_e32 v8, v10, v8
.LBB40_36:                              ;   in Loop: Header=BB40_9 Depth=2
	s_or_b64 exec, exec, s[42:43]
                                        ; implicit-def: $vgpr9
                                        ; implicit-def: $vgpr10
.LBB40_37:                              ;   in Loop: Header=BB40_9 Depth=2
	s_andn2_saveexec_b64 s[40:41], s[40:41]
	s_cbranch_execz .LBB40_39
; %bb.38:                               ;   in Loop: Header=BB40_9 Depth=2
	v_div_scale_f32 v8, s[4:5], v9, v9, v10
	v_rcp_f32_e32 v11, v8
	v_div_scale_f32 v12, vcc, v10, v9, v10
	v_fma_f32 v13, -v8, v11, 1.0
	v_fmac_f32_e32 v11, v13, v11
	v_mul_f32_e32 v13, v12, v11
	v_fma_f32 v14, -v8, v13, v12
	v_fmac_f32_e32 v13, v14, v11
	v_fma_f32 v8, -v8, v13, v12
	v_div_fmas_f32 v8, v8, v11, v13
	v_div_fixup_f32 v8, v8, v9, v10
	v_fma_f32 v8, v8, v8, 1.0
	v_mul_f32_e32 v10, 0x4f800000, v8
	v_cmp_gt_f32_e32 vcc, s52, v8
	s_nop 1
	v_cndmask_b32_e32 v8, v8, v10, vcc
	v_sqrt_f32_e32 v10, v8
	s_nop 0
	v_add_u32_e32 v11, -1, v10
	v_fma_f32 v12, -v11, v10, v8
	v_cmp_ge_f32_e64 s[4:5], 0, v12
	v_add_u32_e32 v12, 1, v10
	s_nop 0
	v_cndmask_b32_e64 v11, v10, v11, s[4:5]
	v_fma_f32 v10, -v12, v10, v8
	v_cmp_lt_f32_e64 s[4:5], 0, v10
	s_nop 1
	v_cndmask_b32_e64 v10, v11, v12, s[4:5]
	v_mul_f32_e32 v11, 0x37800000, v10
	v_cndmask_b32_e32 v10, v10, v11, vcc
	v_cmp_class_f32_e32 vcc, v8, v26
	s_nop 1
	v_cndmask_b32_e32 v8, v10, v8, vcc
	v_mul_f32_e32 v8, v9, v8
.LBB40_39:                              ;   in Loop: Header=BB40_9 Depth=2
	s_or_b64 exec, exec, s[40:41]
	v_cmp_gt_f32_e32 vcc, 0, v6
                                        ; implicit-def: $vgpr11
	s_nop 1
	v_cndmask_b32_e64 v9, v6, -v6, vcc
	v_cmp_gt_f32_e32 vcc, 0, v7
	s_nop 1
	v_cndmask_b32_e64 v10, v7, -v7, vcc
	v_cmp_ngt_f32_e32 vcc, v9, v10
	s_and_saveexec_b64 s[4:5], vcc
	s_xor_b64 s[40:41], exec, s[4:5]
	s_cbranch_execnz .LBB40_42
; %bb.40:                               ;   in Loop: Header=BB40_9 Depth=2
	s_andn2_saveexec_b64 s[40:41], s[40:41]
	s_cbranch_execnz .LBB40_45
.LBB40_41:                              ;   in Loop: Header=BB40_9 Depth=2
	s_or_b64 exec, exec, s[40:41]
	v_cmp_class_f32_e64 s[40:41], v11, s53
	s_and_saveexec_b64 s[4:5], s[40:41]
	s_cbranch_execz .LBB40_8
	s_branch .LBB40_46
.LBB40_42:                              ;   in Loop: Header=BB40_9 Depth=2
	v_mov_b32_e32 v11, 0
	v_cmp_neq_f32_e32 vcc, 0, v7
	s_and_saveexec_b64 s[42:43], vcc
	s_cbranch_execz .LBB40_44
; %bb.43:                               ;   in Loop: Header=BB40_9 Depth=2
	v_div_scale_f32 v11, s[4:5], v10, v10, v9
	v_rcp_f32_e32 v12, v11
	v_div_scale_f32 v13, vcc, v9, v10, v9
	v_fma_f32 v14, -v11, v12, 1.0
	v_fmac_f32_e32 v12, v14, v12
	v_mul_f32_e32 v14, v13, v12
	v_fma_f32 v15, -v11, v14, v13
	v_fmac_f32_e32 v14, v15, v12
	v_fma_f32 v11, -v11, v14, v13
	v_div_fmas_f32 v11, v11, v12, v14
	v_div_fixup_f32 v9, v11, v10, v9
	v_fma_f32 v9, v9, v9, 1.0
	v_mul_f32_e32 v11, 0x4f800000, v9
	v_cmp_gt_f32_e32 vcc, s52, v9
	s_nop 1
	v_cndmask_b32_e32 v9, v9, v11, vcc
	v_sqrt_f32_e32 v11, v9
	s_nop 0
	v_add_u32_e32 v12, -1, v11
	v_fma_f32 v13, -v12, v11, v9
	v_cmp_ge_f32_e64 s[4:5], 0, v13
	v_add_u32_e32 v13, 1, v11
	s_nop 0
	v_cndmask_b32_e64 v12, v11, v12, s[4:5]
	v_fma_f32 v11, -v13, v11, v9
	v_cmp_lt_f32_e64 s[4:5], 0, v11
	s_nop 1
	v_cndmask_b32_e64 v11, v12, v13, s[4:5]
	v_mul_f32_e32 v12, 0x37800000, v11
	v_cndmask_b32_e32 v11, v11, v12, vcc
	v_cmp_class_f32_e32 vcc, v9, v26
	s_nop 1
	v_cndmask_b32_e32 v9, v11, v9, vcc
	v_mul_f32_e32 v11, v10, v9
.LBB40_44:                              ;   in Loop: Header=BB40_9 Depth=2
	s_or_b64 exec, exec, s[42:43]
                                        ; implicit-def: $vgpr9
                                        ; implicit-def: $vgpr10
	s_andn2_saveexec_b64 s[40:41], s[40:41]
	s_cbranch_execz .LBB40_41
.LBB40_45:                              ;   in Loop: Header=BB40_9 Depth=2
	v_div_scale_f32 v11, s[4:5], v9, v9, v10
	v_rcp_f32_e32 v12, v11
	v_div_scale_f32 v13, vcc, v10, v9, v10
	v_fma_f32 v14, -v11, v12, 1.0
	v_fmac_f32_e32 v12, v14, v12
	v_mul_f32_e32 v14, v13, v12
	v_fma_f32 v15, -v11, v14, v13
	v_fmac_f32_e32 v14, v15, v12
	v_fma_f32 v11, -v11, v14, v13
	v_div_fmas_f32 v11, v11, v12, v14
	v_div_fixup_f32 v10, v11, v9, v10
	v_fma_f32 v10, v10, v10, 1.0
	v_mul_f32_e32 v11, 0x4f800000, v10
	v_cmp_gt_f32_e32 vcc, s52, v10
	s_nop 1
	v_cndmask_b32_e32 v10, v10, v11, vcc
	v_sqrt_f32_e32 v11, v10
	s_nop 0
	v_add_u32_e32 v12, -1, v11
	v_fma_f32 v13, -v12, v11, v10
	v_cmp_ge_f32_e64 s[4:5], 0, v13
	v_add_u32_e32 v13, 1, v11
	s_nop 0
	v_cndmask_b32_e64 v12, v11, v12, s[4:5]
	v_fma_f32 v11, -v13, v11, v10
	v_cmp_lt_f32_e64 s[4:5], 0, v11
	s_nop 1
	v_cndmask_b32_e64 v11, v12, v13, s[4:5]
	v_mul_f32_e32 v12, 0x37800000, v11
	v_cndmask_b32_e32 v11, v11, v12, vcc
	v_cmp_class_f32_e32 vcc, v10, v26
	s_nop 1
	v_cndmask_b32_e32 v10, v11, v10, vcc
	v_mul_f32_e32 v11, v9, v10
	s_or_b64 exec, exec, s[40:41]
	v_cmp_class_f32_e64 s[40:41], v11, s53
	s_and_saveexec_b64 s[4:5], s[40:41]
	s_cbranch_execz .LBB40_8
.LBB40_46:                              ;   in Loop: Header=BB40_9 Depth=2
	v_lshl_add_u64 v[10:11], v[4:5], 3, s[14:15]
	global_store_dwordx2 v[10:11], v[6:7], off
	s_branch .LBB40_8
.LBB40_47:
	s_or_b64 exec, exec, s[6:7]
	v_mov_b32_dpp v2, v24 row_shr:1 row_mask:0xf bank_mask:0xf
	v_cmp_lt_f32_e32 vcc, v24, v2
	s_nop 1
	v_cndmask_b32_e32 v2, v24, v2, vcc
	v_cmp_eq_u32_e32 vcc, 3, v22
	s_nop 0
	v_mov_b32_dpp v3, v2 row_shr:2 row_mask:0xf bank_mask:0xf
	s_and_saveexec_b64 s[2:3], vcc
; %bb.48:
	v_cmp_lt_f32_e32 vcc, v2, v3
	v_lshlrev_b32_e32 v1, 2, v1
	s_nop 0
	v_cndmask_b32_e32 v2, v2, v3, vcc
	ds_write_b32 v1, v2
; %bb.49:
	s_or_b64 exec, exec, s[2:3]
	s_movk_i32 s2, 0x80
	v_cmp_gt_u32_e32 vcc, s2, v0
	v_lshlrev_b32_e32 v1, 2, v0
	s_waitcnt lgkmcnt(0)
	s_barrier
	s_and_saveexec_b64 s[2:3], vcc
	s_cbranch_execz .LBB40_51
; %bb.50:
	ds_read2st64_b32 v[2:3], v1 offset1:2
	s_waitcnt lgkmcnt(0)
	v_cmp_lt_f32_e32 vcc, v2, v3
	s_nop 1
	v_cndmask_b32_e32 v2, v2, v3, vcc
	ds_write_b32 v1, v2
.LBB40_51:
	s_or_b64 exec, exec, s[2:3]
	v_cmp_gt_u32_e32 vcc, 64, v0
	s_waitcnt lgkmcnt(0)
	s_barrier
	s_and_saveexec_b64 s[2:3], vcc
	s_cbranch_execz .LBB40_53
; %bb.52:
	ds_read2st64_b32 v[2:3], v1 offset1:1
	s_waitcnt lgkmcnt(0)
	v_cmp_lt_f32_e32 vcc, v2, v3
	s_nop 1
	v_cndmask_b32_e32 v2, v2, v3, vcc
	ds_write_b32 v1, v2
.LBB40_53:
	s_or_b64 exec, exec, s[2:3]
	v_cmp_gt_u32_e32 vcc, 32, v0
	s_waitcnt lgkmcnt(0)
	s_barrier
	s_and_saveexec_b64 s[2:3], vcc
	s_cbranch_execz .LBB40_55
; %bb.54:
	ds_read2_b32 v[2:3], v1 offset1:32
	s_waitcnt lgkmcnt(0)
	v_cmp_lt_f32_e32 vcc, v2, v3
	s_nop 1
	v_cndmask_b32_e32 v2, v2, v3, vcc
	ds_write_b32 v1, v2
.LBB40_55:
	s_or_b64 exec, exec, s[2:3]
	v_cmp_gt_u32_e32 vcc, 16, v0
	s_waitcnt lgkmcnt(0)
	s_barrier
	s_and_saveexec_b64 s[2:3], vcc
	s_cbranch_execz .LBB40_57
; %bb.56:
	ds_read2_b32 v[2:3], v1 offset1:16
	s_waitcnt lgkmcnt(0)
	v_cmp_lt_f32_e32 vcc, v2, v3
	s_nop 1
	v_cndmask_b32_e32 v2, v2, v3, vcc
	ds_write_b32 v1, v2
.LBB40_57:
	;; [unrolled: 14-line block ×5, first 2 shown]
	s_or_b64 exec, exec, s[2:3]
	v_cmp_eq_u32_e32 vcc, 0, v0
	s_waitcnt lgkmcnt(0)
	s_barrier
	s_and_saveexec_b64 s[4:5], vcc
	s_cbranch_execz .LBB40_65
; %bb.64:
	v_mov_b32_e32 v2, 0
	ds_read_b64 v[0:1], v2
	s_waitcnt lgkmcnt(0)
	v_cmp_lt_f32_e64 s[2:3], v0, v1
	s_nop 1
	v_cndmask_b32_e64 v0, v0, v1, s[2:3]
	ds_write_b32 v2, v0
.LBB40_65:
	s_or_b64 exec, exec, s[4:5]
	s_waitcnt lgkmcnt(0)
	s_barrier
	s_and_saveexec_b64 s[2:3], vcc
	s_cbranch_execz .LBB40_69
; %bb.66:
	v_mbcnt_lo_u32_b32 v0, exec_lo, 0
	v_mbcnt_hi_u32_b32 v0, exec_hi, v0
	v_cmp_eq_u32_e32 vcc, 0, v0
	s_and_b64 exec, exec, vcc
	s_cbranch_execz .LBB40_69
; %bb.67:
	s_load_dwordx4 s[0:3], s[0:1], 0x70
	v_mov_b32_e32 v2, 0
	ds_read_b32 v0, v2
	s_waitcnt lgkmcnt(0)
	s_load_dword s6, s[2:3], 0x0
	s_mov_b64 s[2:3], 0
	s_waitcnt lgkmcnt(0)
	v_div_scale_f32 v1, s[4:5], s6, s6, v0
	v_rcp_f32_e32 v3, v1
	v_div_scale_f32 v4, vcc, v0, s6, v0
	s_load_dword s4, s[0:1], 0x0
	v_fma_f32 v5, -v1, v3, 1.0
	v_fmac_f32_e32 v3, v5, v3
	v_mul_f32_e32 v5, v4, v3
	v_fma_f32 v6, -v1, v5, v4
	v_fmac_f32_e32 v5, v6, v3
	v_fma_f32 v1, -v1, v5, v4
	v_div_fmas_f32 v1, v1, v3, v5
	v_div_fixup_f32 v0, v1, s6, v0
	s_waitcnt lgkmcnt(0)
	v_mov_b32_e32 v1, s4
	v_max_f32_e32 v3, v0, v0
.LBB40_68:                              ; =>This Inner Loop Header: Depth=1
	v_max_f32_e32 v0, v1, v1
	v_max_f32_e32 v0, v0, v3
	global_atomic_cmpswap v0, v2, v[0:1], s[0:1] sc0
	s_waitcnt vmcnt(0)
	v_cmp_eq_u32_e32 vcc, v0, v1
	s_or_b64 s[2:3], vcc, s[2:3]
	v_mov_b32_e32 v1, v0
	s_andn2_b64 exec, exec, s[2:3]
	s_cbranch_execnz .LBB40_68
.LBB40_69:
	s_endpgm
	.section	.rodata,"a",@progbits
	.p2align	6, 0x0
	.amdhsa_kernel _ZN9rocsparseL16kernel_calculateILi1024ELi4ELb1E21rocsparse_complex_numIfEiiEEvT4_T3_PKS4_S6_PKS3_PKT2_21rocsparse_index_base_S6_S6_S8_S6_S6_S8_S6_PS9_PNS_15floating_traitsIS9_E6data_tEPKSG_
		.amdhsa_group_segment_fixed_size 1024
		.amdhsa_private_segment_fixed_size 0
		.amdhsa_kernarg_size 128
		.amdhsa_user_sgpr_count 2
		.amdhsa_user_sgpr_dispatch_ptr 0
		.amdhsa_user_sgpr_queue_ptr 0
		.amdhsa_user_sgpr_kernarg_segment_ptr 1
		.amdhsa_user_sgpr_dispatch_id 0
		.amdhsa_user_sgpr_kernarg_preload_length 0
		.amdhsa_user_sgpr_kernarg_preload_offset 0
		.amdhsa_user_sgpr_private_segment_size 0
		.amdhsa_uses_dynamic_stack 0
		.amdhsa_enable_private_segment 0
		.amdhsa_system_sgpr_workgroup_id_x 1
		.amdhsa_system_sgpr_workgroup_id_y 0
		.amdhsa_system_sgpr_workgroup_id_z 0
		.amdhsa_system_sgpr_workgroup_info 0
		.amdhsa_system_vgpr_workitem_id 0
		.amdhsa_next_free_vgpr 34
		.amdhsa_next_free_sgpr 58
		.amdhsa_accum_offset 36
		.amdhsa_reserve_vcc 1
		.amdhsa_float_round_mode_32 0
		.amdhsa_float_round_mode_16_64 0
		.amdhsa_float_denorm_mode_32 3
		.amdhsa_float_denorm_mode_16_64 3
		.amdhsa_dx10_clamp 1
		.amdhsa_ieee_mode 1
		.amdhsa_fp16_overflow 0
		.amdhsa_tg_split 0
		.amdhsa_exception_fp_ieee_invalid_op 0
		.amdhsa_exception_fp_denorm_src 0
		.amdhsa_exception_fp_ieee_div_zero 0
		.amdhsa_exception_fp_ieee_overflow 0
		.amdhsa_exception_fp_ieee_underflow 0
		.amdhsa_exception_fp_ieee_inexact 0
		.amdhsa_exception_int_div_zero 0
	.end_amdhsa_kernel
	.section	.text._ZN9rocsparseL16kernel_calculateILi1024ELi4ELb1E21rocsparse_complex_numIfEiiEEvT4_T3_PKS4_S6_PKS3_PKT2_21rocsparse_index_base_S6_S6_S8_S6_S6_S8_S6_PS9_PNS_15floating_traitsIS9_E6data_tEPKSG_,"axG",@progbits,_ZN9rocsparseL16kernel_calculateILi1024ELi4ELb1E21rocsparse_complex_numIfEiiEEvT4_T3_PKS4_S6_PKS3_PKT2_21rocsparse_index_base_S6_S6_S8_S6_S6_S8_S6_PS9_PNS_15floating_traitsIS9_E6data_tEPKSG_,comdat
.Lfunc_end40:
	.size	_ZN9rocsparseL16kernel_calculateILi1024ELi4ELb1E21rocsparse_complex_numIfEiiEEvT4_T3_PKS4_S6_PKS3_PKT2_21rocsparse_index_base_S6_S6_S8_S6_S6_S8_S6_PS9_PNS_15floating_traitsIS9_E6data_tEPKSG_, .Lfunc_end40-_ZN9rocsparseL16kernel_calculateILi1024ELi4ELb1E21rocsparse_complex_numIfEiiEEvT4_T3_PKS4_S6_PKS3_PKT2_21rocsparse_index_base_S6_S6_S8_S6_S6_S8_S6_PS9_PNS_15floating_traitsIS9_E6data_tEPKSG_
                                        ; -- End function
	.set _ZN9rocsparseL16kernel_calculateILi1024ELi4ELb1E21rocsparse_complex_numIfEiiEEvT4_T3_PKS4_S6_PKS3_PKT2_21rocsparse_index_base_S6_S6_S8_S6_S6_S8_S6_PS9_PNS_15floating_traitsIS9_E6data_tEPKSG_.num_vgpr, 34
	.set _ZN9rocsparseL16kernel_calculateILi1024ELi4ELb1E21rocsparse_complex_numIfEiiEEvT4_T3_PKS4_S6_PKS3_PKT2_21rocsparse_index_base_S6_S6_S8_S6_S6_S8_S6_PS9_PNS_15floating_traitsIS9_E6data_tEPKSG_.num_agpr, 0
	.set _ZN9rocsparseL16kernel_calculateILi1024ELi4ELb1E21rocsparse_complex_numIfEiiEEvT4_T3_PKS4_S6_PKS3_PKT2_21rocsparse_index_base_S6_S6_S8_S6_S6_S8_S6_PS9_PNS_15floating_traitsIS9_E6data_tEPKSG_.numbered_sgpr, 58
	.set _ZN9rocsparseL16kernel_calculateILi1024ELi4ELb1E21rocsparse_complex_numIfEiiEEvT4_T3_PKS4_S6_PKS3_PKT2_21rocsparse_index_base_S6_S6_S8_S6_S6_S8_S6_PS9_PNS_15floating_traitsIS9_E6data_tEPKSG_.num_named_barrier, 0
	.set _ZN9rocsparseL16kernel_calculateILi1024ELi4ELb1E21rocsparse_complex_numIfEiiEEvT4_T3_PKS4_S6_PKS3_PKT2_21rocsparse_index_base_S6_S6_S8_S6_S6_S8_S6_PS9_PNS_15floating_traitsIS9_E6data_tEPKSG_.private_seg_size, 0
	.set _ZN9rocsparseL16kernel_calculateILi1024ELi4ELb1E21rocsparse_complex_numIfEiiEEvT4_T3_PKS4_S6_PKS3_PKT2_21rocsparse_index_base_S6_S6_S8_S6_S6_S8_S6_PS9_PNS_15floating_traitsIS9_E6data_tEPKSG_.uses_vcc, 1
	.set _ZN9rocsparseL16kernel_calculateILi1024ELi4ELb1E21rocsparse_complex_numIfEiiEEvT4_T3_PKS4_S6_PKS3_PKT2_21rocsparse_index_base_S6_S6_S8_S6_S6_S8_S6_PS9_PNS_15floating_traitsIS9_E6data_tEPKSG_.uses_flat_scratch, 0
	.set _ZN9rocsparseL16kernel_calculateILi1024ELi4ELb1E21rocsparse_complex_numIfEiiEEvT4_T3_PKS4_S6_PKS3_PKT2_21rocsparse_index_base_S6_S6_S8_S6_S6_S8_S6_PS9_PNS_15floating_traitsIS9_E6data_tEPKSG_.has_dyn_sized_stack, 0
	.set _ZN9rocsparseL16kernel_calculateILi1024ELi4ELb1E21rocsparse_complex_numIfEiiEEvT4_T3_PKS4_S6_PKS3_PKT2_21rocsparse_index_base_S6_S6_S8_S6_S6_S8_S6_PS9_PNS_15floating_traitsIS9_E6data_tEPKSG_.has_recursion, 0
	.set _ZN9rocsparseL16kernel_calculateILi1024ELi4ELb1E21rocsparse_complex_numIfEiiEEvT4_T3_PKS4_S6_PKS3_PKT2_21rocsparse_index_base_S6_S6_S8_S6_S6_S8_S6_PS9_PNS_15floating_traitsIS9_E6data_tEPKSG_.has_indirect_call, 0
	.section	.AMDGPU.csdata,"",@progbits
; Kernel info:
; codeLenInByte = 3188
; TotalNumSgprs: 64
; NumVgprs: 34
; NumAgprs: 0
; TotalNumVgprs: 34
; ScratchSize: 0
; MemoryBound: 0
; FloatMode: 240
; IeeeMode: 1
; LDSByteSize: 1024 bytes/workgroup (compile time only)
; SGPRBlocks: 7
; VGPRBlocks: 4
; NumSGPRsForWavesPerEU: 64
; NumVGPRsForWavesPerEU: 34
; AccumOffset: 36
; Occupancy: 8
; WaveLimiterHint : 1
; COMPUTE_PGM_RSRC2:SCRATCH_EN: 0
; COMPUTE_PGM_RSRC2:USER_SGPR: 2
; COMPUTE_PGM_RSRC2:TRAP_HANDLER: 0
; COMPUTE_PGM_RSRC2:TGID_X_EN: 1
; COMPUTE_PGM_RSRC2:TGID_Y_EN: 0
; COMPUTE_PGM_RSRC2:TGID_Z_EN: 0
; COMPUTE_PGM_RSRC2:TIDIG_COMP_CNT: 0
; COMPUTE_PGM_RSRC3_GFX90A:ACCUM_OFFSET: 8
; COMPUTE_PGM_RSRC3_GFX90A:TG_SPLIT: 0
	.section	.text._ZN9rocsparseL16kernel_calculateILi1024ELi8ELb1E21rocsparse_complex_numIfEiiEEvT4_T3_PKS4_S6_PKS3_PKT2_21rocsparse_index_base_S6_S6_S8_S6_S6_S8_S6_PS9_PNS_15floating_traitsIS9_E6data_tEPKSG_,"axG",@progbits,_ZN9rocsparseL16kernel_calculateILi1024ELi8ELb1E21rocsparse_complex_numIfEiiEEvT4_T3_PKS4_S6_PKS3_PKT2_21rocsparse_index_base_S6_S6_S8_S6_S6_S8_S6_PS9_PNS_15floating_traitsIS9_E6data_tEPKSG_,comdat
	.globl	_ZN9rocsparseL16kernel_calculateILi1024ELi8ELb1E21rocsparse_complex_numIfEiiEEvT4_T3_PKS4_S6_PKS3_PKT2_21rocsparse_index_base_S6_S6_S8_S6_S6_S8_S6_PS9_PNS_15floating_traitsIS9_E6data_tEPKSG_ ; -- Begin function _ZN9rocsparseL16kernel_calculateILi1024ELi8ELb1E21rocsparse_complex_numIfEiiEEvT4_T3_PKS4_S6_PKS3_PKT2_21rocsparse_index_base_S6_S6_S8_S6_S6_S8_S6_PS9_PNS_15floating_traitsIS9_E6data_tEPKSG_
	.p2align	8
	.type	_ZN9rocsparseL16kernel_calculateILi1024ELi8ELb1E21rocsparse_complex_numIfEiiEEvT4_T3_PKS4_S6_PKS3_PKT2_21rocsparse_index_base_S6_S6_S8_S6_S6_S8_S6_PS9_PNS_15floating_traitsIS9_E6data_tEPKSG_,@function
_ZN9rocsparseL16kernel_calculateILi1024ELi8ELb1E21rocsparse_complex_numIfEiiEEvT4_T3_PKS4_S6_PKS3_PKT2_21rocsparse_index_base_S6_S6_S8_S6_S6_S8_S6_PS9_PNS_15floating_traitsIS9_E6data_tEPKSG_: ; @_ZN9rocsparseL16kernel_calculateILi1024ELi8ELb1E21rocsparse_complex_numIfEiiEEvT4_T3_PKS4_S6_PKS3_PKT2_21rocsparse_index_base_S6_S6_S8_S6_S6_S8_S6_PS9_PNS_15floating_traitsIS9_E6data_tEPKSG_
; %bb.0:
	s_load_dword s33, s[0:1], 0x0
	v_lshrrev_b32_e32 v1, 3, v0
	v_lshl_or_b32 v23, s2, 10, v1
	v_and_b32_e32 v22, 7, v0
	v_mov_b32_e32 v24, 0
	s_waitcnt lgkmcnt(0)
	v_cmp_gt_i32_e32 vcc, s33, v23
	s_and_saveexec_b64 s[6:7], vcc
	s_cbranch_execz .LBB41_47
; %bb.1:
	s_load_dword s50, s[0:1], 0x28
	s_load_dwordx8 s[8:15], s[0:1], 0x50
	s_load_dwordx8 s[16:23], s[0:1], 0x30
	;; [unrolled: 1-line block ×3, first 2 shown]
	v_mov_b32_e32 v24, 0
	s_waitcnt lgkmcnt(0)
	v_subrev_u32_e32 v25, s50, v22
	s_mov_b32 s51, 0
	s_mov_b32 s52, 0xf800000
	v_mov_b32_e32 v26, 0x260
	s_movk_i32 s53, 0x1f8
	s_mov_b32 s54, 0x7f800000
	s_branch .LBB41_5
.LBB41_2:                               ;   in Loop: Header=BB41_5 Depth=1
	s_or_b64 exec, exec, s[38:39]
.LBB41_3:                               ;   in Loop: Header=BB41_5 Depth=1
	s_or_b64 exec, exec, s[36:37]
.LBB41_4:                               ;   in Loop: Header=BB41_5 Depth=1
	s_or_b64 exec, exec, s[34:35]
	s_add_i32 s51, s51, 1
	s_cmp_lg_u32 s51, 8
	s_cbranch_scc0 .LBB41_47
.LBB41_5:                               ; =>This Loop Header: Depth=1
                                        ;     Child Loop BB41_9 Depth 2
                                        ;       Child Loop BB41_12 Depth 3
                                        ;       Child Loop BB41_20 Depth 3
	;; [unrolled: 1-line block ×3, first 2 shown]
	v_lshl_add_u32 v2, s51, 7, v23
	v_cmp_gt_i32_e32 vcc, s33, v2
	s_and_saveexec_b64 s[34:35], vcc
	s_cbranch_execz .LBB41_4
; %bb.6:                                ;   in Loop: Header=BB41_5 Depth=1
	v_ashrrev_i32_e32 v3, 31, v2
	v_lshlrev_b64 v[6:7], 2, v[2:3]
	v_lshl_add_u64 v[4:5], s[26:27], 0, v[6:7]
	global_load_dword v3, v[4:5], off
	v_lshl_add_u64 v[4:5], s[24:25], 0, v[6:7]
	global_load_dword v4, v[4:5], off
	s_waitcnt vmcnt(1)
	v_subrev_u32_e32 v3, s50, v3
	s_waitcnt vmcnt(0)
	v_add_u32_e32 v4, v25, v4
	v_cmp_lt_i32_e32 vcc, v4, v3
	s_and_saveexec_b64 s[36:37], vcc
	s_cbranch_execz .LBB41_3
; %bb.7:                                ;   in Loop: Header=BB41_5 Depth=1
	v_lshl_add_u64 v[8:9], s[18:19], 0, v[6:7]
	v_lshl_add_u64 v[6:7], s[16:17], 0, v[6:7]
	global_load_dword v5, v[8:9], off
	s_mov_b64 s[38:39], 0
	global_load_dword v6, v[6:7], off
	s_waitcnt vmcnt(1)
	v_subrev_u32_e32 v27, s50, v5
	s_waitcnt vmcnt(0)
	v_subrev_u32_e32 v28, s50, v6
	v_cmp_lt_i32_e64 s[2:3], v6, v5
	s_branch .LBB41_9
.LBB41_8:                               ;   in Loop: Header=BB41_9 Depth=2
	s_or_b64 exec, exec, s[4:5]
	v_cmp_nlg_f32_e64 s[4:5], |v8|, s54
	v_cmp_gt_f32_e32 vcc, v24, v8
	v_add_u32_e32 v4, 8, v4
	s_or_b64 vcc, s[4:5], vcc
	v_cmp_ge_i32_e64 s[4:5], v4, v3
	s_or_b64 s[38:39], s[4:5], s[38:39]
	v_cndmask_b32_e32 v24, v8, v24, vcc
	s_andn2_b64 exec, exec, s[38:39]
	s_cbranch_execz .LBB41_2
.LBB41_9:                               ;   Parent Loop BB41_5 Depth=1
                                        ; =>  This Loop Header: Depth=2
                                        ;       Child Loop BB41_12 Depth 3
                                        ;       Child Loop BB41_20 Depth 3
	;; [unrolled: 1-line block ×3, first 2 shown]
	v_ashrrev_i32_e32 v5, 31, v4
	v_lshl_add_u64 v[6:7], v[4:5], 2, s[28:29]
	global_load_dword v29, v[6:7], off
	v_mov_b32_e32 v19, 0
	v_mov_b32_e32 v18, v19
	s_waitcnt vmcnt(0)
	v_subrev_u32_e32 v8, s50, v29
	v_ashrrev_i32_e32 v9, 31, v8
	v_lshlrev_b64 v[6:7], 2, v[8:9]
	v_lshl_add_u64 v[10:11], s[18:19], 0, v[6:7]
	global_load_dword v9, v[10:11], off
	v_lshl_add_u64 v[10:11], s[8:9], 0, v[6:7]
	v_lshl_add_u64 v[6:7], s[22:23], 0, v[6:7]
	global_load_dword v13, v[6:7], off
	v_lshl_add_u64 v[6:7], v[4:5], 3, s[30:31]
	global_load_dwordx2 v[16:17], v[6:7], off
	global_load_dword v12, v[10:11], off
	s_waitcnt vmcnt(3)
	v_subrev_u32_e32 v6, s50, v9
	v_ashrrev_i32_e32 v7, 31, v6
	v_lshl_add_u64 v[6:7], v[6:7], 3, s[14:15]
	global_load_dwordx2 v[10:11], v[6:7], off
	s_waitcnt vmcnt(3)
	v_subrev_u32_e32 v14, s50, v13
	s_waitcnt vmcnt(1)
	v_cmp_lt_i32_e32 vcc, v13, v12
	v_subrev_u32_e32 v9, s50, v12
	s_and_b64 s[4:5], s[2:3], vcc
	v_mov_b32_e32 v12, v28
	s_and_saveexec_b64 s[40:41], s[4:5]
	s_cbranch_execz .LBB41_15
; %bb.10:                               ;   in Loop: Header=BB41_9 Depth=2
	v_mov_b32_e32 v18, 0
	s_mov_b64 s[42:43], 0
	v_mov_b32_e32 v12, v28
	v_mov_b32_e32 v19, v18
	s_branch .LBB41_12
.LBB41_11:                              ;   in Loop: Header=BB41_12 Depth=3
	s_or_b64 exec, exec, s[4:5]
	v_cmp_le_i32_e32 vcc, v6, v7
	s_nop 1
	v_addc_co_u32_e32 v12, vcc, 0, v12, vcc
	v_cmp_ge_i32_e32 vcc, v6, v7
	s_nop 1
	v_addc_co_u32_e32 v14, vcc, 0, v14, vcc
	v_cmp_ge_i32_e32 vcc, v12, v27
	v_cmp_ge_i32_e64 s[4:5], v14, v9
	s_or_b64 s[4:5], vcc, s[4:5]
	s_and_b64 s[4:5], exec, s[4:5]
	s_or_b64 s[42:43], s[4:5], s[42:43]
	s_andn2_b64 exec, exec, s[42:43]
	s_cbranch_execz .LBB41_14
.LBB41_12:                              ;   Parent Loop BB41_5 Depth=1
                                        ;     Parent Loop BB41_9 Depth=2
                                        ; =>    This Inner Loop Header: Depth=3
	v_ashrrev_i32_e32 v13, 31, v12
	v_ashrrev_i32_e32 v15, 31, v14
	v_lshl_add_u64 v[6:7], v[12:13], 2, s[20:21]
	v_lshl_add_u64 v[20:21], v[14:15], 2, s[10:11]
	global_load_dword v6, v[6:7], off
	s_nop 0
	global_load_dword v7, v[20:21], off
	s_waitcnt vmcnt(0)
	v_cmp_eq_u32_e32 vcc, v6, v7
	s_and_saveexec_b64 s[4:5], vcc
	s_cbranch_execz .LBB41_11
; %bb.13:                               ;   in Loop: Header=BB41_12 Depth=3
	v_lshl_add_u64 v[20:21], v[14:15], 2, s[12:13]
	global_load_dword v20, v[20:21], off
	v_lshl_add_u64 v[30:31], v[12:13], 3, s[14:15]
	global_load_dwordx2 v[30:31], v[30:31], off
	s_waitcnt vmcnt(1)
	v_ashrrev_i32_e32 v21, 31, v20
	v_lshl_add_u64 v[20:21], v[20:21], 3, s[14:15]
	global_load_dwordx2 v[20:21], v[20:21], off
	s_waitcnt vmcnt(1)
	v_xor_b32_e32 v32, 0x80000000, v31
	v_mov_b32_e32 v33, v30
	s_waitcnt vmcnt(0)
	v_pk_fma_f32 v[18:19], v[30:31], v[20:21], v[18:19] op_sel_hi:[1,0,1]
	s_nop 0
	v_pk_fma_f32 v[18:19], v[32:33], v[20:21], v[18:19] op_sel:[0,1,0]
	s_branch .LBB41_11
.LBB41_14:                              ;   in Loop: Header=BB41_9 Depth=2
	s_or_b64 exec, exec, s[42:43]
.LBB41_15:                              ;   in Loop: Header=BB41_9 Depth=2
	s_or_b64 exec, exec, s[40:41]
	v_pk_add_f32 v[6:7], v[16:17], v[18:19] neg_lo:[0,1] neg_hi:[0,1]
	v_cmp_gt_i32_e32 vcc, v2, v8
	s_and_saveexec_b64 s[4:5], vcc
	s_cbranch_execz .LBB41_17
; %bb.16:                               ;   in Loop: Header=BB41_9 Depth=2
	s_waitcnt vmcnt(0)
	v_mul_f32_e32 v13, v11, v11
	v_fmac_f32_e32 v13, v10, v10
	v_div_scale_f32 v15, s[40:41], v13, v13, 1.0
	v_rcp_f32_e32 v20, v15
	v_div_scale_f32 v21, vcc, 1.0, v13, 1.0
	v_mov_b32_e32 v32, v11
	v_fma_f32 v30, -v15, v20, 1.0
	v_fmac_f32_e32 v20, v30, v20
	v_mul_f32_e32 v30, v21, v20
	v_fma_f32 v31, -v15, v30, v21
	v_fmac_f32_e32 v30, v31, v20
	v_fma_f32 v15, -v15, v30, v21
	v_div_fmas_f32 v15, v15, v20, v30
	v_xor_b32_e32 v31, 0x80000000, v6
	v_mov_b32_e32 v30, v7
	v_pk_mul_f32 v[30:31], v[32:33], v[30:31] op_sel_hi:[0,1]
	v_div_fixup_f32 v20, v15, v13, 1.0
	v_pk_fma_f32 v[6:7], v[6:7], v[10:11], v[30:31] op_sel_hi:[1,0,1]
	s_nop 0
	v_pk_mul_f32 v[6:7], v[20:21], v[6:7] op_sel_hi:[0,1]
.LBB41_17:                              ;   in Loop: Header=BB41_9 Depth=2
	s_or_b64 exec, exec, s[4:5]
	v_pk_add_f32 v[16:17], v[18:19], v[16:17] neg_lo:[0,1] neg_hi:[0,1]
	v_cmp_lt_i32_e32 vcc, v14, v9
	s_and_saveexec_b64 s[4:5], vcc
	s_cbranch_execz .LBB41_25
; %bb.18:                               ;   in Loop: Header=BB41_9 Depth=2
	v_ashrrev_i32_e32 v15, 31, v14
	v_lshl_add_u64 v[18:19], v[14:15], 2, s[10:11]
	s_mov_b64 s[40:41], 0
                                        ; implicit-def: $sgpr42_sgpr43
                                        ; implicit-def: $sgpr46_sgpr47
                                        ; implicit-def: $sgpr44_sgpr45
	s_branch .LBB41_20
.LBB41_19:                              ;   in Loop: Header=BB41_20 Depth=3
	s_or_b64 exec, exec, s[48:49]
	s_and_b64 s[48:49], exec, s[46:47]
	s_or_b64 s[40:41], s[48:49], s[40:41]
	s_andn2_b64 s[42:43], s[42:43], exec
	s_and_b64 s[48:49], s[44:45], exec
	s_or_b64 s[42:43], s[42:43], s[48:49]
	s_andn2_b64 exec, exec, s[40:41]
	s_cbranch_execz .LBB41_22
.LBB41_20:                              ;   Parent Loop BB41_5 Depth=1
                                        ;     Parent Loop BB41_9 Depth=2
                                        ; =>    This Inner Loop Header: Depth=3
	global_load_dword v13, v[18:19], off
	v_mov_b64_e32 v[20:21], v[14:15]
	s_or_b64 s[44:45], s[44:45], exec
	s_or_b64 s[46:47], s[46:47], exec
                                        ; implicit-def: $vgpr14_vgpr15
	s_waitcnt vmcnt(0)
	v_subrev_u32_e32 v13, s50, v13
	v_cmp_ne_u32_e32 vcc, v13, v2
	s_and_saveexec_b64 s[48:49], vcc
	s_cbranch_execz .LBB41_19
; %bb.21:                               ;   in Loop: Header=BB41_20 Depth=3
	v_lshl_add_u64 v[14:15], v[20:21], 0, 1
	v_cmp_ge_i32_e32 vcc, v14, v9
	s_andn2_b64 s[46:47], s[46:47], exec
	s_and_b64 s[56:57], vcc, exec
	v_lshl_add_u64 v[18:19], v[18:19], 0, 4
	s_andn2_b64 s[44:45], s[44:45], exec
	s_or_b64 s[46:47], s[46:47], s[56:57]
	s_branch .LBB41_19
.LBB41_22:                              ;   in Loop: Header=BB41_9 Depth=2
	s_or_b64 exec, exec, s[40:41]
	s_and_saveexec_b64 s[40:41], s[42:43]
	s_xor_b64 s[40:41], exec, s[40:41]
	s_cbranch_execz .LBB41_24
; %bb.23:                               ;   in Loop: Header=BB41_9 Depth=2
	v_lshl_add_u64 v[14:15], v[20:21], 2, s[12:13]
	global_load_dword v14, v[14:15], off
	s_waitcnt vmcnt(0)
	v_ashrrev_i32_e32 v15, 31, v14
	v_lshl_add_u64 v[14:15], v[14:15], 3, s[14:15]
	global_load_dwordx2 v[14:15], v[14:15], off
	s_waitcnt vmcnt(0)
	v_pk_add_f32 v[16:17], v[16:17], v[14:15]
.LBB41_24:                              ;   in Loop: Header=BB41_9 Depth=2
	s_or_b64 exec, exec, s[40:41]
.LBB41_25:                              ;   in Loop: Header=BB41_9 Depth=2
	s_or_b64 exec, exec, s[4:5]
	v_cmp_lt_i32_e32 vcc, v12, v27
	s_and_saveexec_b64 s[4:5], vcc
	s_cbranch_execz .LBB41_33
; %bb.26:                               ;   in Loop: Header=BB41_9 Depth=2
	v_ashrrev_i32_e32 v13, 31, v12
	v_lshl_add_u64 v[14:15], v[12:13], 2, s[20:21]
	s_mov_b64 s[40:41], 0
                                        ; implicit-def: $sgpr42_sgpr43
                                        ; implicit-def: $sgpr46_sgpr47
                                        ; implicit-def: $sgpr44_sgpr45
	s_branch .LBB41_28
.LBB41_27:                              ;   in Loop: Header=BB41_28 Depth=3
	s_or_b64 exec, exec, s[48:49]
	s_and_b64 s[48:49], exec, s[46:47]
	s_or_b64 s[40:41], s[48:49], s[40:41]
	s_andn2_b64 s[42:43], s[42:43], exec
	s_and_b64 s[48:49], s[44:45], exec
	s_or_b64 s[42:43], s[42:43], s[48:49]
	s_andn2_b64 exec, exec, s[40:41]
	s_cbranch_execz .LBB41_30
.LBB41_28:                              ;   Parent Loop BB41_5 Depth=1
                                        ;     Parent Loop BB41_9 Depth=2
                                        ; =>    This Inner Loop Header: Depth=3
	global_load_dword v9, v[14:15], off
	v_mov_b64_e32 v[18:19], v[12:13]
	s_or_b64 s[44:45], s[44:45], exec
	s_or_b64 s[46:47], s[46:47], exec
                                        ; implicit-def: $vgpr12_vgpr13
	s_waitcnt vmcnt(0)
	v_cmp_ne_u32_e32 vcc, v9, v29
	s_and_saveexec_b64 s[48:49], vcc
	s_cbranch_execz .LBB41_27
; %bb.29:                               ;   in Loop: Header=BB41_28 Depth=3
	v_lshl_add_u64 v[12:13], v[18:19], 0, 1
	v_cmp_ge_i32_e32 vcc, v12, v27
	s_andn2_b64 s[46:47], s[46:47], exec
	s_and_b64 s[56:57], vcc, exec
	v_lshl_add_u64 v[14:15], v[14:15], 0, 4
	s_andn2_b64 s[44:45], s[44:45], exec
	s_or_b64 s[46:47], s[46:47], s[56:57]
	s_branch .LBB41_27
.LBB41_30:                              ;   in Loop: Header=BB41_9 Depth=2
	s_or_b64 exec, exec, s[40:41]
	s_and_saveexec_b64 s[40:41], s[42:43]
	s_xor_b64 s[40:41], exec, s[40:41]
	s_cbranch_execz .LBB41_32
; %bb.31:                               ;   in Loop: Header=BB41_9 Depth=2
	v_lshl_add_u64 v[12:13], v[18:19], 3, s[14:15]
	global_load_dwordx2 v[12:13], v[12:13], off
	s_waitcnt vmcnt(0)
	v_xor_b32_e32 v14, 0x80000000, v13
	v_pk_fma_f32 v[16:17], v[12:13], v[10:11], v[16:17] op_sel_hi:[1,0,1]
	v_mov_b32_e32 v15, v12
	v_mov_b32_e32 v12, v11
	v_pk_fma_f32 v[16:17], v[14:15], v[12:13], v[16:17] op_sel_hi:[1,0,1]
.LBB41_32:                              ;   in Loop: Header=BB41_9 Depth=2
	s_or_b64 exec, exec, s[40:41]
.LBB41_33:                              ;   in Loop: Header=BB41_9 Depth=2
	s_or_b64 exec, exec, s[4:5]
	s_waitcnt vmcnt(0)
	v_add_f32_e32 v9, v10, v16
	v_cmp_eq_u32_e32 vcc, v2, v8
	v_add_f32_e32 v10, v11, v17
	s_nop 0
	v_cndmask_b32_e32 v8, v16, v9, vcc
	v_cndmask_b32_e32 v11, v17, v10, vcc
	v_cmp_gt_f32_e32 vcc, 0, v8
	s_nop 1
	v_cndmask_b32_e64 v9, v8, -v8, vcc
	v_cmp_gt_f32_e32 vcc, 0, v11
                                        ; implicit-def: $vgpr8
	s_nop 1
	v_cndmask_b32_e64 v10, v11, -v11, vcc
	v_cmp_ngt_f32_e32 vcc, v9, v10
	s_and_saveexec_b64 s[4:5], vcc
	s_xor_b64 s[40:41], exec, s[4:5]
	s_cbranch_execz .LBB41_37
; %bb.34:                               ;   in Loop: Header=BB41_9 Depth=2
	v_mov_b32_e32 v8, 0
	v_cmp_neq_f32_e32 vcc, 0, v11
	s_and_saveexec_b64 s[42:43], vcc
	s_cbranch_execz .LBB41_36
; %bb.35:                               ;   in Loop: Header=BB41_9 Depth=2
	v_div_scale_f32 v8, s[4:5], v10, v10, v9
	v_rcp_f32_e32 v11, v8
	v_div_scale_f32 v12, vcc, v9, v10, v9
	v_fma_f32 v13, -v8, v11, 1.0
	v_fmac_f32_e32 v11, v13, v11
	v_mul_f32_e32 v13, v12, v11
	v_fma_f32 v14, -v8, v13, v12
	v_fmac_f32_e32 v13, v14, v11
	v_fma_f32 v8, -v8, v13, v12
	v_div_fmas_f32 v8, v8, v11, v13
	v_div_fixup_f32 v8, v8, v10, v9
	v_fma_f32 v8, v8, v8, 1.0
	v_mul_f32_e32 v9, 0x4f800000, v8
	v_cmp_gt_f32_e32 vcc, s52, v8
	s_nop 1
	v_cndmask_b32_e32 v8, v8, v9, vcc
	v_sqrt_f32_e32 v9, v8
	s_nop 0
	v_add_u32_e32 v11, -1, v9
	v_fma_f32 v12, -v11, v9, v8
	v_cmp_ge_f32_e64 s[4:5], 0, v12
	v_add_u32_e32 v12, 1, v9
	s_nop 0
	v_cndmask_b32_e64 v11, v9, v11, s[4:5]
	v_fma_f32 v9, -v12, v9, v8
	v_cmp_lt_f32_e64 s[4:5], 0, v9
	s_nop 1
	v_cndmask_b32_e64 v9, v11, v12, s[4:5]
	v_mul_f32_e32 v11, 0x37800000, v9
	v_cndmask_b32_e32 v9, v9, v11, vcc
	v_cmp_class_f32_e32 vcc, v8, v26
	s_nop 1
	v_cndmask_b32_e32 v8, v9, v8, vcc
	v_mul_f32_e32 v8, v10, v8
.LBB41_36:                              ;   in Loop: Header=BB41_9 Depth=2
	s_or_b64 exec, exec, s[42:43]
                                        ; implicit-def: $vgpr9
                                        ; implicit-def: $vgpr10
.LBB41_37:                              ;   in Loop: Header=BB41_9 Depth=2
	s_andn2_saveexec_b64 s[40:41], s[40:41]
	s_cbranch_execz .LBB41_39
; %bb.38:                               ;   in Loop: Header=BB41_9 Depth=2
	v_div_scale_f32 v8, s[4:5], v9, v9, v10
	v_rcp_f32_e32 v11, v8
	v_div_scale_f32 v12, vcc, v10, v9, v10
	v_fma_f32 v13, -v8, v11, 1.0
	v_fmac_f32_e32 v11, v13, v11
	v_mul_f32_e32 v13, v12, v11
	v_fma_f32 v14, -v8, v13, v12
	v_fmac_f32_e32 v13, v14, v11
	v_fma_f32 v8, -v8, v13, v12
	v_div_fmas_f32 v8, v8, v11, v13
	v_div_fixup_f32 v8, v8, v9, v10
	v_fma_f32 v8, v8, v8, 1.0
	v_mul_f32_e32 v10, 0x4f800000, v8
	v_cmp_gt_f32_e32 vcc, s52, v8
	s_nop 1
	v_cndmask_b32_e32 v8, v8, v10, vcc
	v_sqrt_f32_e32 v10, v8
	s_nop 0
	v_add_u32_e32 v11, -1, v10
	v_fma_f32 v12, -v11, v10, v8
	v_cmp_ge_f32_e64 s[4:5], 0, v12
	v_add_u32_e32 v12, 1, v10
	s_nop 0
	v_cndmask_b32_e64 v11, v10, v11, s[4:5]
	v_fma_f32 v10, -v12, v10, v8
	v_cmp_lt_f32_e64 s[4:5], 0, v10
	s_nop 1
	v_cndmask_b32_e64 v10, v11, v12, s[4:5]
	v_mul_f32_e32 v11, 0x37800000, v10
	v_cndmask_b32_e32 v10, v10, v11, vcc
	v_cmp_class_f32_e32 vcc, v8, v26
	s_nop 1
	v_cndmask_b32_e32 v8, v10, v8, vcc
	v_mul_f32_e32 v8, v9, v8
.LBB41_39:                              ;   in Loop: Header=BB41_9 Depth=2
	s_or_b64 exec, exec, s[40:41]
	v_cmp_gt_f32_e32 vcc, 0, v6
                                        ; implicit-def: $vgpr11
	s_nop 1
	v_cndmask_b32_e64 v9, v6, -v6, vcc
	v_cmp_gt_f32_e32 vcc, 0, v7
	s_nop 1
	v_cndmask_b32_e64 v10, v7, -v7, vcc
	v_cmp_ngt_f32_e32 vcc, v9, v10
	s_and_saveexec_b64 s[4:5], vcc
	s_xor_b64 s[40:41], exec, s[4:5]
	s_cbranch_execnz .LBB41_42
; %bb.40:                               ;   in Loop: Header=BB41_9 Depth=2
	s_andn2_saveexec_b64 s[40:41], s[40:41]
	s_cbranch_execnz .LBB41_45
.LBB41_41:                              ;   in Loop: Header=BB41_9 Depth=2
	s_or_b64 exec, exec, s[40:41]
	v_cmp_class_f32_e64 s[40:41], v11, s53
	s_and_saveexec_b64 s[4:5], s[40:41]
	s_cbranch_execz .LBB41_8
	s_branch .LBB41_46
.LBB41_42:                              ;   in Loop: Header=BB41_9 Depth=2
	v_mov_b32_e32 v11, 0
	v_cmp_neq_f32_e32 vcc, 0, v7
	s_and_saveexec_b64 s[42:43], vcc
	s_cbranch_execz .LBB41_44
; %bb.43:                               ;   in Loop: Header=BB41_9 Depth=2
	v_div_scale_f32 v11, s[4:5], v10, v10, v9
	v_rcp_f32_e32 v12, v11
	v_div_scale_f32 v13, vcc, v9, v10, v9
	v_fma_f32 v14, -v11, v12, 1.0
	v_fmac_f32_e32 v12, v14, v12
	v_mul_f32_e32 v14, v13, v12
	v_fma_f32 v15, -v11, v14, v13
	v_fmac_f32_e32 v14, v15, v12
	v_fma_f32 v11, -v11, v14, v13
	v_div_fmas_f32 v11, v11, v12, v14
	v_div_fixup_f32 v9, v11, v10, v9
	v_fma_f32 v9, v9, v9, 1.0
	v_mul_f32_e32 v11, 0x4f800000, v9
	v_cmp_gt_f32_e32 vcc, s52, v9
	s_nop 1
	v_cndmask_b32_e32 v9, v9, v11, vcc
	v_sqrt_f32_e32 v11, v9
	s_nop 0
	v_add_u32_e32 v12, -1, v11
	v_fma_f32 v13, -v12, v11, v9
	v_cmp_ge_f32_e64 s[4:5], 0, v13
	v_add_u32_e32 v13, 1, v11
	s_nop 0
	v_cndmask_b32_e64 v12, v11, v12, s[4:5]
	v_fma_f32 v11, -v13, v11, v9
	v_cmp_lt_f32_e64 s[4:5], 0, v11
	s_nop 1
	v_cndmask_b32_e64 v11, v12, v13, s[4:5]
	v_mul_f32_e32 v12, 0x37800000, v11
	v_cndmask_b32_e32 v11, v11, v12, vcc
	v_cmp_class_f32_e32 vcc, v9, v26
	s_nop 1
	v_cndmask_b32_e32 v9, v11, v9, vcc
	v_mul_f32_e32 v11, v10, v9
.LBB41_44:                              ;   in Loop: Header=BB41_9 Depth=2
	s_or_b64 exec, exec, s[42:43]
                                        ; implicit-def: $vgpr9
                                        ; implicit-def: $vgpr10
	s_andn2_saveexec_b64 s[40:41], s[40:41]
	s_cbranch_execz .LBB41_41
.LBB41_45:                              ;   in Loop: Header=BB41_9 Depth=2
	v_div_scale_f32 v11, s[4:5], v9, v9, v10
	v_rcp_f32_e32 v12, v11
	v_div_scale_f32 v13, vcc, v10, v9, v10
	v_fma_f32 v14, -v11, v12, 1.0
	v_fmac_f32_e32 v12, v14, v12
	v_mul_f32_e32 v14, v13, v12
	v_fma_f32 v15, -v11, v14, v13
	v_fmac_f32_e32 v14, v15, v12
	v_fma_f32 v11, -v11, v14, v13
	v_div_fmas_f32 v11, v11, v12, v14
	v_div_fixup_f32 v10, v11, v9, v10
	v_fma_f32 v10, v10, v10, 1.0
	v_mul_f32_e32 v11, 0x4f800000, v10
	v_cmp_gt_f32_e32 vcc, s52, v10
	s_nop 1
	v_cndmask_b32_e32 v10, v10, v11, vcc
	v_sqrt_f32_e32 v11, v10
	s_nop 0
	v_add_u32_e32 v12, -1, v11
	v_fma_f32 v13, -v12, v11, v10
	v_cmp_ge_f32_e64 s[4:5], 0, v13
	v_add_u32_e32 v13, 1, v11
	s_nop 0
	v_cndmask_b32_e64 v12, v11, v12, s[4:5]
	v_fma_f32 v11, -v13, v11, v10
	v_cmp_lt_f32_e64 s[4:5], 0, v11
	s_nop 1
	v_cndmask_b32_e64 v11, v12, v13, s[4:5]
	v_mul_f32_e32 v12, 0x37800000, v11
	v_cndmask_b32_e32 v11, v11, v12, vcc
	v_cmp_class_f32_e32 vcc, v10, v26
	s_nop 1
	v_cndmask_b32_e32 v10, v11, v10, vcc
	v_mul_f32_e32 v11, v9, v10
	s_or_b64 exec, exec, s[40:41]
	v_cmp_class_f32_e64 s[40:41], v11, s53
	s_and_saveexec_b64 s[4:5], s[40:41]
	s_cbranch_execz .LBB41_8
.LBB41_46:                              ;   in Loop: Header=BB41_9 Depth=2
	v_lshl_add_u64 v[10:11], v[4:5], 3, s[14:15]
	global_store_dwordx2 v[10:11], v[6:7], off
	s_branch .LBB41_8
.LBB41_47:
	s_or_b64 exec, exec, s[6:7]
	v_mov_b32_dpp v2, v24 row_shr:1 row_mask:0xf bank_mask:0xf
	v_cmp_lt_f32_e32 vcc, v24, v2
	s_nop 1
	v_cndmask_b32_e32 v2, v24, v2, vcc
	s_nop 1
	v_mov_b32_dpp v3, v2 row_shr:2 row_mask:0xf bank_mask:0xf
	v_cmp_lt_f32_e32 vcc, v2, v3
	s_nop 1
	v_cndmask_b32_e32 v2, v2, v3, vcc
	v_cmp_eq_u32_e32 vcc, 7, v22
	s_nop 0
	v_mov_b32_dpp v3, v2 row_shr:4 row_mask:0xf bank_mask:0xe
	s_and_saveexec_b64 s[2:3], vcc
; %bb.48:
	v_cmp_lt_f32_e32 vcc, v2, v3
	v_lshlrev_b32_e32 v1, 2, v1
	s_nop 0
	v_cndmask_b32_e32 v2, v2, v3, vcc
	ds_write_b32 v1, v2
; %bb.49:
	s_or_b64 exec, exec, s[2:3]
	v_cmp_gt_u32_e32 vcc, 64, v0
	v_lshlrev_b32_e32 v1, 2, v0
	s_waitcnt lgkmcnt(0)
	s_barrier
	s_and_saveexec_b64 s[2:3], vcc
	s_cbranch_execz .LBB41_51
; %bb.50:
	ds_read2st64_b32 v[2:3], v1 offset1:1
	s_waitcnt lgkmcnt(0)
	v_cmp_lt_f32_e32 vcc, v2, v3
	s_nop 1
	v_cndmask_b32_e32 v2, v2, v3, vcc
	ds_write_b32 v1, v2
.LBB41_51:
	s_or_b64 exec, exec, s[2:3]
	v_cmp_gt_u32_e32 vcc, 32, v0
	s_waitcnt lgkmcnt(0)
	s_barrier
	s_and_saveexec_b64 s[2:3], vcc
	s_cbranch_execz .LBB41_53
; %bb.52:
	ds_read2_b32 v[2:3], v1 offset1:32
	s_waitcnt lgkmcnt(0)
	v_cmp_lt_f32_e32 vcc, v2, v3
	s_nop 1
	v_cndmask_b32_e32 v2, v2, v3, vcc
	ds_write_b32 v1, v2
.LBB41_53:
	s_or_b64 exec, exec, s[2:3]
	v_cmp_gt_u32_e32 vcc, 16, v0
	s_waitcnt lgkmcnt(0)
	s_barrier
	s_and_saveexec_b64 s[2:3], vcc
	s_cbranch_execz .LBB41_55
; %bb.54:
	ds_read2_b32 v[2:3], v1 offset1:16
	s_waitcnt lgkmcnt(0)
	v_cmp_lt_f32_e32 vcc, v2, v3
	s_nop 1
	v_cndmask_b32_e32 v2, v2, v3, vcc
	ds_write_b32 v1, v2
.LBB41_55:
	;; [unrolled: 14-line block ×5, first 2 shown]
	s_or_b64 exec, exec, s[2:3]
	v_cmp_eq_u32_e32 vcc, 0, v0
	s_waitcnt lgkmcnt(0)
	s_barrier
	s_and_saveexec_b64 s[4:5], vcc
	s_cbranch_execz .LBB41_63
; %bb.62:
	v_mov_b32_e32 v2, 0
	ds_read_b64 v[0:1], v2
	s_waitcnt lgkmcnt(0)
	v_cmp_lt_f32_e64 s[2:3], v0, v1
	s_nop 1
	v_cndmask_b32_e64 v0, v0, v1, s[2:3]
	ds_write_b32 v2, v0
.LBB41_63:
	s_or_b64 exec, exec, s[4:5]
	s_waitcnt lgkmcnt(0)
	s_barrier
	s_and_saveexec_b64 s[2:3], vcc
	s_cbranch_execz .LBB41_67
; %bb.64:
	v_mbcnt_lo_u32_b32 v0, exec_lo, 0
	v_mbcnt_hi_u32_b32 v0, exec_hi, v0
	v_cmp_eq_u32_e32 vcc, 0, v0
	s_and_b64 exec, exec, vcc
	s_cbranch_execz .LBB41_67
; %bb.65:
	s_load_dwordx4 s[0:3], s[0:1], 0x70
	v_mov_b32_e32 v2, 0
	ds_read_b32 v0, v2
	s_waitcnt lgkmcnt(0)
	s_load_dword s6, s[2:3], 0x0
	s_mov_b64 s[2:3], 0
	s_waitcnt lgkmcnt(0)
	v_div_scale_f32 v1, s[4:5], s6, s6, v0
	v_rcp_f32_e32 v3, v1
	v_div_scale_f32 v4, vcc, v0, s6, v0
	s_load_dword s4, s[0:1], 0x0
	v_fma_f32 v5, -v1, v3, 1.0
	v_fmac_f32_e32 v3, v5, v3
	v_mul_f32_e32 v5, v4, v3
	v_fma_f32 v6, -v1, v5, v4
	v_fmac_f32_e32 v5, v6, v3
	v_fma_f32 v1, -v1, v5, v4
	v_div_fmas_f32 v1, v1, v3, v5
	v_div_fixup_f32 v0, v1, s6, v0
	s_waitcnt lgkmcnt(0)
	v_mov_b32_e32 v1, s4
	v_max_f32_e32 v3, v0, v0
.LBB41_66:                              ; =>This Inner Loop Header: Depth=1
	v_max_f32_e32 v0, v1, v1
	v_max_f32_e32 v0, v0, v3
	global_atomic_cmpswap v0, v2, v[0:1], s[0:1] sc0
	s_waitcnt vmcnt(0)
	v_cmp_eq_u32_e32 vcc, v0, v1
	s_or_b64 s[2:3], vcc, s[2:3]
	v_mov_b32_e32 v1, v0
	s_andn2_b64 exec, exec, s[2:3]
	s_cbranch_execnz .LBB41_66
.LBB41_67:
	s_endpgm
	.section	.rodata,"a",@progbits
	.p2align	6, 0x0
	.amdhsa_kernel _ZN9rocsparseL16kernel_calculateILi1024ELi8ELb1E21rocsparse_complex_numIfEiiEEvT4_T3_PKS4_S6_PKS3_PKT2_21rocsparse_index_base_S6_S6_S8_S6_S6_S8_S6_PS9_PNS_15floating_traitsIS9_E6data_tEPKSG_
		.amdhsa_group_segment_fixed_size 512
		.amdhsa_private_segment_fixed_size 0
		.amdhsa_kernarg_size 128
		.amdhsa_user_sgpr_count 2
		.amdhsa_user_sgpr_dispatch_ptr 0
		.amdhsa_user_sgpr_queue_ptr 0
		.amdhsa_user_sgpr_kernarg_segment_ptr 1
		.amdhsa_user_sgpr_dispatch_id 0
		.amdhsa_user_sgpr_kernarg_preload_length 0
		.amdhsa_user_sgpr_kernarg_preload_offset 0
		.amdhsa_user_sgpr_private_segment_size 0
		.amdhsa_uses_dynamic_stack 0
		.amdhsa_enable_private_segment 0
		.amdhsa_system_sgpr_workgroup_id_x 1
		.amdhsa_system_sgpr_workgroup_id_y 0
		.amdhsa_system_sgpr_workgroup_id_z 0
		.amdhsa_system_sgpr_workgroup_info 0
		.amdhsa_system_vgpr_workitem_id 0
		.amdhsa_next_free_vgpr 34
		.amdhsa_next_free_sgpr 58
		.amdhsa_accum_offset 36
		.amdhsa_reserve_vcc 1
		.amdhsa_float_round_mode_32 0
		.amdhsa_float_round_mode_16_64 0
		.amdhsa_float_denorm_mode_32 3
		.amdhsa_float_denorm_mode_16_64 3
		.amdhsa_dx10_clamp 1
		.amdhsa_ieee_mode 1
		.amdhsa_fp16_overflow 0
		.amdhsa_tg_split 0
		.amdhsa_exception_fp_ieee_invalid_op 0
		.amdhsa_exception_fp_denorm_src 0
		.amdhsa_exception_fp_ieee_div_zero 0
		.amdhsa_exception_fp_ieee_overflow 0
		.amdhsa_exception_fp_ieee_underflow 0
		.amdhsa_exception_fp_ieee_inexact 0
		.amdhsa_exception_int_div_zero 0
	.end_amdhsa_kernel
	.section	.text._ZN9rocsparseL16kernel_calculateILi1024ELi8ELb1E21rocsparse_complex_numIfEiiEEvT4_T3_PKS4_S6_PKS3_PKT2_21rocsparse_index_base_S6_S6_S8_S6_S6_S8_S6_PS9_PNS_15floating_traitsIS9_E6data_tEPKSG_,"axG",@progbits,_ZN9rocsparseL16kernel_calculateILi1024ELi8ELb1E21rocsparse_complex_numIfEiiEEvT4_T3_PKS4_S6_PKS3_PKT2_21rocsparse_index_base_S6_S6_S8_S6_S6_S8_S6_PS9_PNS_15floating_traitsIS9_E6data_tEPKSG_,comdat
.Lfunc_end41:
	.size	_ZN9rocsparseL16kernel_calculateILi1024ELi8ELb1E21rocsparse_complex_numIfEiiEEvT4_T3_PKS4_S6_PKS3_PKT2_21rocsparse_index_base_S6_S6_S8_S6_S6_S8_S6_PS9_PNS_15floating_traitsIS9_E6data_tEPKSG_, .Lfunc_end41-_ZN9rocsparseL16kernel_calculateILi1024ELi8ELb1E21rocsparse_complex_numIfEiiEEvT4_T3_PKS4_S6_PKS3_PKT2_21rocsparse_index_base_S6_S6_S8_S6_S6_S8_S6_PS9_PNS_15floating_traitsIS9_E6data_tEPKSG_
                                        ; -- End function
	.set _ZN9rocsparseL16kernel_calculateILi1024ELi8ELb1E21rocsparse_complex_numIfEiiEEvT4_T3_PKS4_S6_PKS3_PKT2_21rocsparse_index_base_S6_S6_S8_S6_S6_S8_S6_PS9_PNS_15floating_traitsIS9_E6data_tEPKSG_.num_vgpr, 34
	.set _ZN9rocsparseL16kernel_calculateILi1024ELi8ELb1E21rocsparse_complex_numIfEiiEEvT4_T3_PKS4_S6_PKS3_PKT2_21rocsparse_index_base_S6_S6_S8_S6_S6_S8_S6_PS9_PNS_15floating_traitsIS9_E6data_tEPKSG_.num_agpr, 0
	.set _ZN9rocsparseL16kernel_calculateILi1024ELi8ELb1E21rocsparse_complex_numIfEiiEEvT4_T3_PKS4_S6_PKS3_PKT2_21rocsparse_index_base_S6_S6_S8_S6_S6_S8_S6_PS9_PNS_15floating_traitsIS9_E6data_tEPKSG_.numbered_sgpr, 58
	.set _ZN9rocsparseL16kernel_calculateILi1024ELi8ELb1E21rocsparse_complex_numIfEiiEEvT4_T3_PKS4_S6_PKS3_PKT2_21rocsparse_index_base_S6_S6_S8_S6_S6_S8_S6_PS9_PNS_15floating_traitsIS9_E6data_tEPKSG_.num_named_barrier, 0
	.set _ZN9rocsparseL16kernel_calculateILi1024ELi8ELb1E21rocsparse_complex_numIfEiiEEvT4_T3_PKS4_S6_PKS3_PKT2_21rocsparse_index_base_S6_S6_S8_S6_S6_S8_S6_PS9_PNS_15floating_traitsIS9_E6data_tEPKSG_.private_seg_size, 0
	.set _ZN9rocsparseL16kernel_calculateILi1024ELi8ELb1E21rocsparse_complex_numIfEiiEEvT4_T3_PKS4_S6_PKS3_PKT2_21rocsparse_index_base_S6_S6_S8_S6_S6_S8_S6_PS9_PNS_15floating_traitsIS9_E6data_tEPKSG_.uses_vcc, 1
	.set _ZN9rocsparseL16kernel_calculateILi1024ELi8ELb1E21rocsparse_complex_numIfEiiEEvT4_T3_PKS4_S6_PKS3_PKT2_21rocsparse_index_base_S6_S6_S8_S6_S6_S8_S6_PS9_PNS_15floating_traitsIS9_E6data_tEPKSG_.uses_flat_scratch, 0
	.set _ZN9rocsparseL16kernel_calculateILi1024ELi8ELb1E21rocsparse_complex_numIfEiiEEvT4_T3_PKS4_S6_PKS3_PKT2_21rocsparse_index_base_S6_S6_S8_S6_S6_S8_S6_PS9_PNS_15floating_traitsIS9_E6data_tEPKSG_.has_dyn_sized_stack, 0
	.set _ZN9rocsparseL16kernel_calculateILi1024ELi8ELb1E21rocsparse_complex_numIfEiiEEvT4_T3_PKS4_S6_PKS3_PKT2_21rocsparse_index_base_S6_S6_S8_S6_S6_S8_S6_PS9_PNS_15floating_traitsIS9_E6data_tEPKSG_.has_recursion, 0
	.set _ZN9rocsparseL16kernel_calculateILi1024ELi8ELb1E21rocsparse_complex_numIfEiiEEvT4_T3_PKS4_S6_PKS3_PKT2_21rocsparse_index_base_S6_S6_S8_S6_S6_S8_S6_PS9_PNS_15floating_traitsIS9_E6data_tEPKSG_.has_indirect_call, 0
	.section	.AMDGPU.csdata,"",@progbits
; Kernel info:
; codeLenInByte = 3152
; TotalNumSgprs: 64
; NumVgprs: 34
; NumAgprs: 0
; TotalNumVgprs: 34
; ScratchSize: 0
; MemoryBound: 0
; FloatMode: 240
; IeeeMode: 1
; LDSByteSize: 512 bytes/workgroup (compile time only)
; SGPRBlocks: 7
; VGPRBlocks: 4
; NumSGPRsForWavesPerEU: 64
; NumVGPRsForWavesPerEU: 34
; AccumOffset: 36
; Occupancy: 8
; WaveLimiterHint : 1
; COMPUTE_PGM_RSRC2:SCRATCH_EN: 0
; COMPUTE_PGM_RSRC2:USER_SGPR: 2
; COMPUTE_PGM_RSRC2:TRAP_HANDLER: 0
; COMPUTE_PGM_RSRC2:TGID_X_EN: 1
; COMPUTE_PGM_RSRC2:TGID_Y_EN: 0
; COMPUTE_PGM_RSRC2:TGID_Z_EN: 0
; COMPUTE_PGM_RSRC2:TIDIG_COMP_CNT: 0
; COMPUTE_PGM_RSRC3_GFX90A:ACCUM_OFFSET: 8
; COMPUTE_PGM_RSRC3_GFX90A:TG_SPLIT: 0
	.section	.text._ZN9rocsparseL16kernel_calculateILi1024ELi16ELb1E21rocsparse_complex_numIfEiiEEvT4_T3_PKS4_S6_PKS3_PKT2_21rocsparse_index_base_S6_S6_S8_S6_S6_S8_S6_PS9_PNS_15floating_traitsIS9_E6data_tEPKSG_,"axG",@progbits,_ZN9rocsparseL16kernel_calculateILi1024ELi16ELb1E21rocsparse_complex_numIfEiiEEvT4_T3_PKS4_S6_PKS3_PKT2_21rocsparse_index_base_S6_S6_S8_S6_S6_S8_S6_PS9_PNS_15floating_traitsIS9_E6data_tEPKSG_,comdat
	.globl	_ZN9rocsparseL16kernel_calculateILi1024ELi16ELb1E21rocsparse_complex_numIfEiiEEvT4_T3_PKS4_S6_PKS3_PKT2_21rocsparse_index_base_S6_S6_S8_S6_S6_S8_S6_PS9_PNS_15floating_traitsIS9_E6data_tEPKSG_ ; -- Begin function _ZN9rocsparseL16kernel_calculateILi1024ELi16ELb1E21rocsparse_complex_numIfEiiEEvT4_T3_PKS4_S6_PKS3_PKT2_21rocsparse_index_base_S6_S6_S8_S6_S6_S8_S6_PS9_PNS_15floating_traitsIS9_E6data_tEPKSG_
	.p2align	8
	.type	_ZN9rocsparseL16kernel_calculateILi1024ELi16ELb1E21rocsparse_complex_numIfEiiEEvT4_T3_PKS4_S6_PKS3_PKT2_21rocsparse_index_base_S6_S6_S8_S6_S6_S8_S6_PS9_PNS_15floating_traitsIS9_E6data_tEPKSG_,@function
_ZN9rocsparseL16kernel_calculateILi1024ELi16ELb1E21rocsparse_complex_numIfEiiEEvT4_T3_PKS4_S6_PKS3_PKT2_21rocsparse_index_base_S6_S6_S8_S6_S6_S8_S6_PS9_PNS_15floating_traitsIS9_E6data_tEPKSG_: ; @_ZN9rocsparseL16kernel_calculateILi1024ELi16ELb1E21rocsparse_complex_numIfEiiEEvT4_T3_PKS4_S6_PKS3_PKT2_21rocsparse_index_base_S6_S6_S8_S6_S6_S8_S6_PS9_PNS_15floating_traitsIS9_E6data_tEPKSG_
; %bb.0:
	s_load_dword s33, s[0:1], 0x0
	v_lshrrev_b32_e32 v1, 4, v0
	v_lshl_or_b32 v23, s2, 10, v1
	v_and_b32_e32 v22, 15, v0
	v_mov_b32_e32 v24, 0
	s_waitcnt lgkmcnt(0)
	v_cmp_gt_i32_e32 vcc, s33, v23
	s_and_saveexec_b64 s[6:7], vcc
	s_cbranch_execz .LBB42_47
; %bb.1:
	s_load_dword s50, s[0:1], 0x28
	s_load_dwordx8 s[8:15], s[0:1], 0x50
	s_load_dwordx8 s[16:23], s[0:1], 0x30
	;; [unrolled: 1-line block ×3, first 2 shown]
	v_mov_b32_e32 v24, 0
	s_waitcnt lgkmcnt(0)
	v_subrev_u32_e32 v25, s50, v22
	s_mov_b32 s51, 0
	s_mov_b32 s52, 0xf800000
	v_mov_b32_e32 v26, 0x260
	s_movk_i32 s53, 0x1f8
	s_mov_b32 s54, 0x7f800000
	s_branch .LBB42_5
.LBB42_2:                               ;   in Loop: Header=BB42_5 Depth=1
	s_or_b64 exec, exec, s[38:39]
.LBB42_3:                               ;   in Loop: Header=BB42_5 Depth=1
	s_or_b64 exec, exec, s[36:37]
.LBB42_4:                               ;   in Loop: Header=BB42_5 Depth=1
	s_or_b64 exec, exec, s[34:35]
	s_add_i32 s51, s51, 1
	s_cmp_lg_u32 s51, 16
	s_cbranch_scc0 .LBB42_47
.LBB42_5:                               ; =>This Loop Header: Depth=1
                                        ;     Child Loop BB42_9 Depth 2
                                        ;       Child Loop BB42_12 Depth 3
                                        ;       Child Loop BB42_20 Depth 3
	;; [unrolled: 1-line block ×3, first 2 shown]
	v_lshl_add_u32 v2, s51, 6, v23
	v_cmp_gt_i32_e32 vcc, s33, v2
	s_and_saveexec_b64 s[34:35], vcc
	s_cbranch_execz .LBB42_4
; %bb.6:                                ;   in Loop: Header=BB42_5 Depth=1
	v_ashrrev_i32_e32 v3, 31, v2
	v_lshlrev_b64 v[6:7], 2, v[2:3]
	v_lshl_add_u64 v[4:5], s[26:27], 0, v[6:7]
	global_load_dword v3, v[4:5], off
	v_lshl_add_u64 v[4:5], s[24:25], 0, v[6:7]
	global_load_dword v4, v[4:5], off
	s_waitcnt vmcnt(1)
	v_subrev_u32_e32 v3, s50, v3
	s_waitcnt vmcnt(0)
	v_add_u32_e32 v4, v25, v4
	v_cmp_lt_i32_e32 vcc, v4, v3
	s_and_saveexec_b64 s[36:37], vcc
	s_cbranch_execz .LBB42_3
; %bb.7:                                ;   in Loop: Header=BB42_5 Depth=1
	v_lshl_add_u64 v[8:9], s[18:19], 0, v[6:7]
	v_lshl_add_u64 v[6:7], s[16:17], 0, v[6:7]
	global_load_dword v5, v[8:9], off
	s_mov_b64 s[38:39], 0
	global_load_dword v6, v[6:7], off
	s_waitcnt vmcnt(1)
	v_subrev_u32_e32 v27, s50, v5
	s_waitcnt vmcnt(0)
	v_subrev_u32_e32 v28, s50, v6
	v_cmp_lt_i32_e64 s[2:3], v6, v5
	s_branch .LBB42_9
.LBB42_8:                               ;   in Loop: Header=BB42_9 Depth=2
	s_or_b64 exec, exec, s[4:5]
	v_cmp_nlg_f32_e64 s[4:5], |v8|, s54
	v_cmp_gt_f32_e32 vcc, v24, v8
	v_add_u32_e32 v4, 16, v4
	s_or_b64 vcc, s[4:5], vcc
	v_cmp_ge_i32_e64 s[4:5], v4, v3
	s_or_b64 s[38:39], s[4:5], s[38:39]
	v_cndmask_b32_e32 v24, v8, v24, vcc
	s_andn2_b64 exec, exec, s[38:39]
	s_cbranch_execz .LBB42_2
.LBB42_9:                               ;   Parent Loop BB42_5 Depth=1
                                        ; =>  This Loop Header: Depth=2
                                        ;       Child Loop BB42_12 Depth 3
                                        ;       Child Loop BB42_20 Depth 3
	;; [unrolled: 1-line block ×3, first 2 shown]
	v_ashrrev_i32_e32 v5, 31, v4
	v_lshl_add_u64 v[6:7], v[4:5], 2, s[28:29]
	global_load_dword v29, v[6:7], off
	v_mov_b32_e32 v19, 0
	v_mov_b32_e32 v18, v19
	s_waitcnt vmcnt(0)
	v_subrev_u32_e32 v8, s50, v29
	v_ashrrev_i32_e32 v9, 31, v8
	v_lshlrev_b64 v[6:7], 2, v[8:9]
	v_lshl_add_u64 v[10:11], s[18:19], 0, v[6:7]
	global_load_dword v9, v[10:11], off
	v_lshl_add_u64 v[10:11], s[8:9], 0, v[6:7]
	v_lshl_add_u64 v[6:7], s[22:23], 0, v[6:7]
	global_load_dword v13, v[6:7], off
	v_lshl_add_u64 v[6:7], v[4:5], 3, s[30:31]
	global_load_dwordx2 v[16:17], v[6:7], off
	global_load_dword v12, v[10:11], off
	s_waitcnt vmcnt(3)
	v_subrev_u32_e32 v6, s50, v9
	v_ashrrev_i32_e32 v7, 31, v6
	v_lshl_add_u64 v[6:7], v[6:7], 3, s[14:15]
	global_load_dwordx2 v[10:11], v[6:7], off
	s_waitcnt vmcnt(3)
	v_subrev_u32_e32 v14, s50, v13
	s_waitcnt vmcnt(1)
	v_cmp_lt_i32_e32 vcc, v13, v12
	v_subrev_u32_e32 v9, s50, v12
	s_and_b64 s[4:5], s[2:3], vcc
	v_mov_b32_e32 v12, v28
	s_and_saveexec_b64 s[40:41], s[4:5]
	s_cbranch_execz .LBB42_15
; %bb.10:                               ;   in Loop: Header=BB42_9 Depth=2
	v_mov_b32_e32 v18, 0
	s_mov_b64 s[42:43], 0
	v_mov_b32_e32 v12, v28
	v_mov_b32_e32 v19, v18
	s_branch .LBB42_12
.LBB42_11:                              ;   in Loop: Header=BB42_12 Depth=3
	s_or_b64 exec, exec, s[4:5]
	v_cmp_le_i32_e32 vcc, v6, v7
	s_nop 1
	v_addc_co_u32_e32 v12, vcc, 0, v12, vcc
	v_cmp_ge_i32_e32 vcc, v6, v7
	s_nop 1
	v_addc_co_u32_e32 v14, vcc, 0, v14, vcc
	v_cmp_ge_i32_e32 vcc, v12, v27
	v_cmp_ge_i32_e64 s[4:5], v14, v9
	s_or_b64 s[4:5], vcc, s[4:5]
	s_and_b64 s[4:5], exec, s[4:5]
	s_or_b64 s[42:43], s[4:5], s[42:43]
	s_andn2_b64 exec, exec, s[42:43]
	s_cbranch_execz .LBB42_14
.LBB42_12:                              ;   Parent Loop BB42_5 Depth=1
                                        ;     Parent Loop BB42_9 Depth=2
                                        ; =>    This Inner Loop Header: Depth=3
	v_ashrrev_i32_e32 v13, 31, v12
	v_ashrrev_i32_e32 v15, 31, v14
	v_lshl_add_u64 v[6:7], v[12:13], 2, s[20:21]
	v_lshl_add_u64 v[20:21], v[14:15], 2, s[10:11]
	global_load_dword v6, v[6:7], off
	s_nop 0
	global_load_dword v7, v[20:21], off
	s_waitcnt vmcnt(0)
	v_cmp_eq_u32_e32 vcc, v6, v7
	s_and_saveexec_b64 s[4:5], vcc
	s_cbranch_execz .LBB42_11
; %bb.13:                               ;   in Loop: Header=BB42_12 Depth=3
	v_lshl_add_u64 v[20:21], v[14:15], 2, s[12:13]
	global_load_dword v20, v[20:21], off
	v_lshl_add_u64 v[30:31], v[12:13], 3, s[14:15]
	global_load_dwordx2 v[30:31], v[30:31], off
	s_waitcnt vmcnt(1)
	v_ashrrev_i32_e32 v21, 31, v20
	v_lshl_add_u64 v[20:21], v[20:21], 3, s[14:15]
	global_load_dwordx2 v[20:21], v[20:21], off
	s_waitcnt vmcnt(1)
	v_xor_b32_e32 v32, 0x80000000, v31
	v_mov_b32_e32 v33, v30
	s_waitcnt vmcnt(0)
	v_pk_fma_f32 v[18:19], v[30:31], v[20:21], v[18:19] op_sel_hi:[1,0,1]
	s_nop 0
	v_pk_fma_f32 v[18:19], v[32:33], v[20:21], v[18:19] op_sel:[0,1,0]
	s_branch .LBB42_11
.LBB42_14:                              ;   in Loop: Header=BB42_9 Depth=2
	s_or_b64 exec, exec, s[42:43]
.LBB42_15:                              ;   in Loop: Header=BB42_9 Depth=2
	s_or_b64 exec, exec, s[40:41]
	v_pk_add_f32 v[6:7], v[16:17], v[18:19] neg_lo:[0,1] neg_hi:[0,1]
	v_cmp_gt_i32_e32 vcc, v2, v8
	s_and_saveexec_b64 s[4:5], vcc
	s_cbranch_execz .LBB42_17
; %bb.16:                               ;   in Loop: Header=BB42_9 Depth=2
	s_waitcnt vmcnt(0)
	v_mul_f32_e32 v13, v11, v11
	v_fmac_f32_e32 v13, v10, v10
	v_div_scale_f32 v15, s[40:41], v13, v13, 1.0
	v_rcp_f32_e32 v20, v15
	v_div_scale_f32 v21, vcc, 1.0, v13, 1.0
	v_mov_b32_e32 v32, v11
	v_fma_f32 v30, -v15, v20, 1.0
	v_fmac_f32_e32 v20, v30, v20
	v_mul_f32_e32 v30, v21, v20
	v_fma_f32 v31, -v15, v30, v21
	v_fmac_f32_e32 v30, v31, v20
	v_fma_f32 v15, -v15, v30, v21
	v_div_fmas_f32 v15, v15, v20, v30
	v_xor_b32_e32 v31, 0x80000000, v6
	v_mov_b32_e32 v30, v7
	v_pk_mul_f32 v[30:31], v[32:33], v[30:31] op_sel_hi:[0,1]
	v_div_fixup_f32 v20, v15, v13, 1.0
	v_pk_fma_f32 v[6:7], v[6:7], v[10:11], v[30:31] op_sel_hi:[1,0,1]
	s_nop 0
	v_pk_mul_f32 v[6:7], v[20:21], v[6:7] op_sel_hi:[0,1]
.LBB42_17:                              ;   in Loop: Header=BB42_9 Depth=2
	s_or_b64 exec, exec, s[4:5]
	v_pk_add_f32 v[16:17], v[18:19], v[16:17] neg_lo:[0,1] neg_hi:[0,1]
	v_cmp_lt_i32_e32 vcc, v14, v9
	s_and_saveexec_b64 s[4:5], vcc
	s_cbranch_execz .LBB42_25
; %bb.18:                               ;   in Loop: Header=BB42_9 Depth=2
	v_ashrrev_i32_e32 v15, 31, v14
	v_lshl_add_u64 v[18:19], v[14:15], 2, s[10:11]
	s_mov_b64 s[40:41], 0
                                        ; implicit-def: $sgpr42_sgpr43
                                        ; implicit-def: $sgpr46_sgpr47
                                        ; implicit-def: $sgpr44_sgpr45
	s_branch .LBB42_20
.LBB42_19:                              ;   in Loop: Header=BB42_20 Depth=3
	s_or_b64 exec, exec, s[48:49]
	s_and_b64 s[48:49], exec, s[46:47]
	s_or_b64 s[40:41], s[48:49], s[40:41]
	s_andn2_b64 s[42:43], s[42:43], exec
	s_and_b64 s[48:49], s[44:45], exec
	s_or_b64 s[42:43], s[42:43], s[48:49]
	s_andn2_b64 exec, exec, s[40:41]
	s_cbranch_execz .LBB42_22
.LBB42_20:                              ;   Parent Loop BB42_5 Depth=1
                                        ;     Parent Loop BB42_9 Depth=2
                                        ; =>    This Inner Loop Header: Depth=3
	global_load_dword v13, v[18:19], off
	v_mov_b64_e32 v[20:21], v[14:15]
	s_or_b64 s[44:45], s[44:45], exec
	s_or_b64 s[46:47], s[46:47], exec
                                        ; implicit-def: $vgpr14_vgpr15
	s_waitcnt vmcnt(0)
	v_subrev_u32_e32 v13, s50, v13
	v_cmp_ne_u32_e32 vcc, v13, v2
	s_and_saveexec_b64 s[48:49], vcc
	s_cbranch_execz .LBB42_19
; %bb.21:                               ;   in Loop: Header=BB42_20 Depth=3
	v_lshl_add_u64 v[14:15], v[20:21], 0, 1
	v_cmp_ge_i32_e32 vcc, v14, v9
	s_andn2_b64 s[46:47], s[46:47], exec
	s_and_b64 s[56:57], vcc, exec
	v_lshl_add_u64 v[18:19], v[18:19], 0, 4
	s_andn2_b64 s[44:45], s[44:45], exec
	s_or_b64 s[46:47], s[46:47], s[56:57]
	s_branch .LBB42_19
.LBB42_22:                              ;   in Loop: Header=BB42_9 Depth=2
	s_or_b64 exec, exec, s[40:41]
	s_and_saveexec_b64 s[40:41], s[42:43]
	s_xor_b64 s[40:41], exec, s[40:41]
	s_cbranch_execz .LBB42_24
; %bb.23:                               ;   in Loop: Header=BB42_9 Depth=2
	v_lshl_add_u64 v[14:15], v[20:21], 2, s[12:13]
	global_load_dword v14, v[14:15], off
	s_waitcnt vmcnt(0)
	v_ashrrev_i32_e32 v15, 31, v14
	v_lshl_add_u64 v[14:15], v[14:15], 3, s[14:15]
	global_load_dwordx2 v[14:15], v[14:15], off
	s_waitcnt vmcnt(0)
	v_pk_add_f32 v[16:17], v[16:17], v[14:15]
.LBB42_24:                              ;   in Loop: Header=BB42_9 Depth=2
	s_or_b64 exec, exec, s[40:41]
.LBB42_25:                              ;   in Loop: Header=BB42_9 Depth=2
	s_or_b64 exec, exec, s[4:5]
	v_cmp_lt_i32_e32 vcc, v12, v27
	s_and_saveexec_b64 s[4:5], vcc
	s_cbranch_execz .LBB42_33
; %bb.26:                               ;   in Loop: Header=BB42_9 Depth=2
	v_ashrrev_i32_e32 v13, 31, v12
	v_lshl_add_u64 v[14:15], v[12:13], 2, s[20:21]
	s_mov_b64 s[40:41], 0
                                        ; implicit-def: $sgpr42_sgpr43
                                        ; implicit-def: $sgpr46_sgpr47
                                        ; implicit-def: $sgpr44_sgpr45
	s_branch .LBB42_28
.LBB42_27:                              ;   in Loop: Header=BB42_28 Depth=3
	s_or_b64 exec, exec, s[48:49]
	s_and_b64 s[48:49], exec, s[46:47]
	s_or_b64 s[40:41], s[48:49], s[40:41]
	s_andn2_b64 s[42:43], s[42:43], exec
	s_and_b64 s[48:49], s[44:45], exec
	s_or_b64 s[42:43], s[42:43], s[48:49]
	s_andn2_b64 exec, exec, s[40:41]
	s_cbranch_execz .LBB42_30
.LBB42_28:                              ;   Parent Loop BB42_5 Depth=1
                                        ;     Parent Loop BB42_9 Depth=2
                                        ; =>    This Inner Loop Header: Depth=3
	global_load_dword v9, v[14:15], off
	v_mov_b64_e32 v[18:19], v[12:13]
	s_or_b64 s[44:45], s[44:45], exec
	s_or_b64 s[46:47], s[46:47], exec
                                        ; implicit-def: $vgpr12_vgpr13
	s_waitcnt vmcnt(0)
	v_cmp_ne_u32_e32 vcc, v9, v29
	s_and_saveexec_b64 s[48:49], vcc
	s_cbranch_execz .LBB42_27
; %bb.29:                               ;   in Loop: Header=BB42_28 Depth=3
	v_lshl_add_u64 v[12:13], v[18:19], 0, 1
	v_cmp_ge_i32_e32 vcc, v12, v27
	s_andn2_b64 s[46:47], s[46:47], exec
	s_and_b64 s[56:57], vcc, exec
	v_lshl_add_u64 v[14:15], v[14:15], 0, 4
	s_andn2_b64 s[44:45], s[44:45], exec
	s_or_b64 s[46:47], s[46:47], s[56:57]
	s_branch .LBB42_27
.LBB42_30:                              ;   in Loop: Header=BB42_9 Depth=2
	s_or_b64 exec, exec, s[40:41]
	s_and_saveexec_b64 s[40:41], s[42:43]
	s_xor_b64 s[40:41], exec, s[40:41]
	s_cbranch_execz .LBB42_32
; %bb.31:                               ;   in Loop: Header=BB42_9 Depth=2
	v_lshl_add_u64 v[12:13], v[18:19], 3, s[14:15]
	global_load_dwordx2 v[12:13], v[12:13], off
	s_waitcnt vmcnt(0)
	v_xor_b32_e32 v14, 0x80000000, v13
	v_pk_fma_f32 v[16:17], v[12:13], v[10:11], v[16:17] op_sel_hi:[1,0,1]
	v_mov_b32_e32 v15, v12
	v_mov_b32_e32 v12, v11
	v_pk_fma_f32 v[16:17], v[14:15], v[12:13], v[16:17] op_sel_hi:[1,0,1]
.LBB42_32:                              ;   in Loop: Header=BB42_9 Depth=2
	s_or_b64 exec, exec, s[40:41]
.LBB42_33:                              ;   in Loop: Header=BB42_9 Depth=2
	s_or_b64 exec, exec, s[4:5]
	s_waitcnt vmcnt(0)
	v_add_f32_e32 v9, v10, v16
	v_cmp_eq_u32_e32 vcc, v2, v8
	v_add_f32_e32 v10, v11, v17
	s_nop 0
	v_cndmask_b32_e32 v8, v16, v9, vcc
	v_cndmask_b32_e32 v11, v17, v10, vcc
	v_cmp_gt_f32_e32 vcc, 0, v8
	s_nop 1
	v_cndmask_b32_e64 v9, v8, -v8, vcc
	v_cmp_gt_f32_e32 vcc, 0, v11
                                        ; implicit-def: $vgpr8
	s_nop 1
	v_cndmask_b32_e64 v10, v11, -v11, vcc
	v_cmp_ngt_f32_e32 vcc, v9, v10
	s_and_saveexec_b64 s[4:5], vcc
	s_xor_b64 s[40:41], exec, s[4:5]
	s_cbranch_execz .LBB42_37
; %bb.34:                               ;   in Loop: Header=BB42_9 Depth=2
	v_mov_b32_e32 v8, 0
	v_cmp_neq_f32_e32 vcc, 0, v11
	s_and_saveexec_b64 s[42:43], vcc
	s_cbranch_execz .LBB42_36
; %bb.35:                               ;   in Loop: Header=BB42_9 Depth=2
	v_div_scale_f32 v8, s[4:5], v10, v10, v9
	v_rcp_f32_e32 v11, v8
	v_div_scale_f32 v12, vcc, v9, v10, v9
	v_fma_f32 v13, -v8, v11, 1.0
	v_fmac_f32_e32 v11, v13, v11
	v_mul_f32_e32 v13, v12, v11
	v_fma_f32 v14, -v8, v13, v12
	v_fmac_f32_e32 v13, v14, v11
	v_fma_f32 v8, -v8, v13, v12
	v_div_fmas_f32 v8, v8, v11, v13
	v_div_fixup_f32 v8, v8, v10, v9
	v_fma_f32 v8, v8, v8, 1.0
	v_mul_f32_e32 v9, 0x4f800000, v8
	v_cmp_gt_f32_e32 vcc, s52, v8
	s_nop 1
	v_cndmask_b32_e32 v8, v8, v9, vcc
	v_sqrt_f32_e32 v9, v8
	s_nop 0
	v_add_u32_e32 v11, -1, v9
	v_fma_f32 v12, -v11, v9, v8
	v_cmp_ge_f32_e64 s[4:5], 0, v12
	v_add_u32_e32 v12, 1, v9
	s_nop 0
	v_cndmask_b32_e64 v11, v9, v11, s[4:5]
	v_fma_f32 v9, -v12, v9, v8
	v_cmp_lt_f32_e64 s[4:5], 0, v9
	s_nop 1
	v_cndmask_b32_e64 v9, v11, v12, s[4:5]
	v_mul_f32_e32 v11, 0x37800000, v9
	v_cndmask_b32_e32 v9, v9, v11, vcc
	v_cmp_class_f32_e32 vcc, v8, v26
	s_nop 1
	v_cndmask_b32_e32 v8, v9, v8, vcc
	v_mul_f32_e32 v8, v10, v8
.LBB42_36:                              ;   in Loop: Header=BB42_9 Depth=2
	s_or_b64 exec, exec, s[42:43]
                                        ; implicit-def: $vgpr9
                                        ; implicit-def: $vgpr10
.LBB42_37:                              ;   in Loop: Header=BB42_9 Depth=2
	s_andn2_saveexec_b64 s[40:41], s[40:41]
	s_cbranch_execz .LBB42_39
; %bb.38:                               ;   in Loop: Header=BB42_9 Depth=2
	v_div_scale_f32 v8, s[4:5], v9, v9, v10
	v_rcp_f32_e32 v11, v8
	v_div_scale_f32 v12, vcc, v10, v9, v10
	v_fma_f32 v13, -v8, v11, 1.0
	v_fmac_f32_e32 v11, v13, v11
	v_mul_f32_e32 v13, v12, v11
	v_fma_f32 v14, -v8, v13, v12
	v_fmac_f32_e32 v13, v14, v11
	v_fma_f32 v8, -v8, v13, v12
	v_div_fmas_f32 v8, v8, v11, v13
	v_div_fixup_f32 v8, v8, v9, v10
	v_fma_f32 v8, v8, v8, 1.0
	v_mul_f32_e32 v10, 0x4f800000, v8
	v_cmp_gt_f32_e32 vcc, s52, v8
	s_nop 1
	v_cndmask_b32_e32 v8, v8, v10, vcc
	v_sqrt_f32_e32 v10, v8
	s_nop 0
	v_add_u32_e32 v11, -1, v10
	v_fma_f32 v12, -v11, v10, v8
	v_cmp_ge_f32_e64 s[4:5], 0, v12
	v_add_u32_e32 v12, 1, v10
	s_nop 0
	v_cndmask_b32_e64 v11, v10, v11, s[4:5]
	v_fma_f32 v10, -v12, v10, v8
	v_cmp_lt_f32_e64 s[4:5], 0, v10
	s_nop 1
	v_cndmask_b32_e64 v10, v11, v12, s[4:5]
	v_mul_f32_e32 v11, 0x37800000, v10
	v_cndmask_b32_e32 v10, v10, v11, vcc
	v_cmp_class_f32_e32 vcc, v8, v26
	s_nop 1
	v_cndmask_b32_e32 v8, v10, v8, vcc
	v_mul_f32_e32 v8, v9, v8
.LBB42_39:                              ;   in Loop: Header=BB42_9 Depth=2
	s_or_b64 exec, exec, s[40:41]
	v_cmp_gt_f32_e32 vcc, 0, v6
                                        ; implicit-def: $vgpr11
	s_nop 1
	v_cndmask_b32_e64 v9, v6, -v6, vcc
	v_cmp_gt_f32_e32 vcc, 0, v7
	s_nop 1
	v_cndmask_b32_e64 v10, v7, -v7, vcc
	v_cmp_ngt_f32_e32 vcc, v9, v10
	s_and_saveexec_b64 s[4:5], vcc
	s_xor_b64 s[40:41], exec, s[4:5]
	s_cbranch_execnz .LBB42_42
; %bb.40:                               ;   in Loop: Header=BB42_9 Depth=2
	s_andn2_saveexec_b64 s[40:41], s[40:41]
	s_cbranch_execnz .LBB42_45
.LBB42_41:                              ;   in Loop: Header=BB42_9 Depth=2
	s_or_b64 exec, exec, s[40:41]
	v_cmp_class_f32_e64 s[40:41], v11, s53
	s_and_saveexec_b64 s[4:5], s[40:41]
	s_cbranch_execz .LBB42_8
	s_branch .LBB42_46
.LBB42_42:                              ;   in Loop: Header=BB42_9 Depth=2
	v_mov_b32_e32 v11, 0
	v_cmp_neq_f32_e32 vcc, 0, v7
	s_and_saveexec_b64 s[42:43], vcc
	s_cbranch_execz .LBB42_44
; %bb.43:                               ;   in Loop: Header=BB42_9 Depth=2
	v_div_scale_f32 v11, s[4:5], v10, v10, v9
	v_rcp_f32_e32 v12, v11
	v_div_scale_f32 v13, vcc, v9, v10, v9
	v_fma_f32 v14, -v11, v12, 1.0
	v_fmac_f32_e32 v12, v14, v12
	v_mul_f32_e32 v14, v13, v12
	v_fma_f32 v15, -v11, v14, v13
	v_fmac_f32_e32 v14, v15, v12
	v_fma_f32 v11, -v11, v14, v13
	v_div_fmas_f32 v11, v11, v12, v14
	v_div_fixup_f32 v9, v11, v10, v9
	v_fma_f32 v9, v9, v9, 1.0
	v_mul_f32_e32 v11, 0x4f800000, v9
	v_cmp_gt_f32_e32 vcc, s52, v9
	s_nop 1
	v_cndmask_b32_e32 v9, v9, v11, vcc
	v_sqrt_f32_e32 v11, v9
	s_nop 0
	v_add_u32_e32 v12, -1, v11
	v_fma_f32 v13, -v12, v11, v9
	v_cmp_ge_f32_e64 s[4:5], 0, v13
	v_add_u32_e32 v13, 1, v11
	s_nop 0
	v_cndmask_b32_e64 v12, v11, v12, s[4:5]
	v_fma_f32 v11, -v13, v11, v9
	v_cmp_lt_f32_e64 s[4:5], 0, v11
	s_nop 1
	v_cndmask_b32_e64 v11, v12, v13, s[4:5]
	v_mul_f32_e32 v12, 0x37800000, v11
	v_cndmask_b32_e32 v11, v11, v12, vcc
	v_cmp_class_f32_e32 vcc, v9, v26
	s_nop 1
	v_cndmask_b32_e32 v9, v11, v9, vcc
	v_mul_f32_e32 v11, v10, v9
.LBB42_44:                              ;   in Loop: Header=BB42_9 Depth=2
	s_or_b64 exec, exec, s[42:43]
                                        ; implicit-def: $vgpr9
                                        ; implicit-def: $vgpr10
	s_andn2_saveexec_b64 s[40:41], s[40:41]
	s_cbranch_execz .LBB42_41
.LBB42_45:                              ;   in Loop: Header=BB42_9 Depth=2
	v_div_scale_f32 v11, s[4:5], v9, v9, v10
	v_rcp_f32_e32 v12, v11
	v_div_scale_f32 v13, vcc, v10, v9, v10
	v_fma_f32 v14, -v11, v12, 1.0
	v_fmac_f32_e32 v12, v14, v12
	v_mul_f32_e32 v14, v13, v12
	v_fma_f32 v15, -v11, v14, v13
	v_fmac_f32_e32 v14, v15, v12
	v_fma_f32 v11, -v11, v14, v13
	v_div_fmas_f32 v11, v11, v12, v14
	v_div_fixup_f32 v10, v11, v9, v10
	v_fma_f32 v10, v10, v10, 1.0
	v_mul_f32_e32 v11, 0x4f800000, v10
	v_cmp_gt_f32_e32 vcc, s52, v10
	s_nop 1
	v_cndmask_b32_e32 v10, v10, v11, vcc
	v_sqrt_f32_e32 v11, v10
	s_nop 0
	v_add_u32_e32 v12, -1, v11
	v_fma_f32 v13, -v12, v11, v10
	v_cmp_ge_f32_e64 s[4:5], 0, v13
	v_add_u32_e32 v13, 1, v11
	s_nop 0
	v_cndmask_b32_e64 v12, v11, v12, s[4:5]
	v_fma_f32 v11, -v13, v11, v10
	v_cmp_lt_f32_e64 s[4:5], 0, v11
	s_nop 1
	v_cndmask_b32_e64 v11, v12, v13, s[4:5]
	v_mul_f32_e32 v12, 0x37800000, v11
	v_cndmask_b32_e32 v11, v11, v12, vcc
	v_cmp_class_f32_e32 vcc, v10, v26
	s_nop 1
	v_cndmask_b32_e32 v10, v11, v10, vcc
	v_mul_f32_e32 v11, v9, v10
	s_or_b64 exec, exec, s[40:41]
	v_cmp_class_f32_e64 s[40:41], v11, s53
	s_and_saveexec_b64 s[4:5], s[40:41]
	s_cbranch_execz .LBB42_8
.LBB42_46:                              ;   in Loop: Header=BB42_9 Depth=2
	v_lshl_add_u64 v[10:11], v[4:5], 3, s[14:15]
	global_store_dwordx2 v[10:11], v[6:7], off
	s_branch .LBB42_8
.LBB42_47:
	s_or_b64 exec, exec, s[6:7]
	v_mov_b32_dpp v2, v24 row_shr:1 row_mask:0xf bank_mask:0xf
	v_cmp_lt_f32_e32 vcc, v24, v2
	s_nop 1
	v_cndmask_b32_e32 v2, v24, v2, vcc
	s_nop 1
	v_mov_b32_dpp v3, v2 row_shr:2 row_mask:0xf bank_mask:0xf
	v_cmp_lt_f32_e32 vcc, v2, v3
	s_nop 1
	v_cndmask_b32_e32 v2, v2, v3, vcc
	s_nop 1
	v_mov_b32_dpp v3, v2 row_shr:4 row_mask:0xf bank_mask:0xe
	v_cmp_lt_f32_e32 vcc, v2, v3
	s_nop 1
	v_cndmask_b32_e32 v2, v2, v3, vcc
	v_cmp_eq_u32_e32 vcc, 15, v22
	s_nop 0
	v_mov_b32_dpp v3, v2 row_shr:8 row_mask:0xf bank_mask:0xc
	s_and_saveexec_b64 s[2:3], vcc
; %bb.48:
	v_cmp_lt_f32_e32 vcc, v2, v3
	v_lshlrev_b32_e32 v1, 2, v1
	s_nop 0
	v_cndmask_b32_e32 v2, v2, v3, vcc
	ds_write_b32 v1, v2
; %bb.49:
	s_or_b64 exec, exec, s[2:3]
	v_cmp_gt_u32_e32 vcc, 32, v0
	v_lshlrev_b32_e32 v1, 2, v0
	s_waitcnt lgkmcnt(0)
	s_barrier
	s_and_saveexec_b64 s[2:3], vcc
	s_cbranch_execz .LBB42_51
; %bb.50:
	ds_read2_b32 v[2:3], v1 offset1:32
	s_waitcnt lgkmcnt(0)
	v_cmp_lt_f32_e32 vcc, v2, v3
	s_nop 1
	v_cndmask_b32_e32 v2, v2, v3, vcc
	ds_write_b32 v1, v2
.LBB42_51:
	s_or_b64 exec, exec, s[2:3]
	v_cmp_gt_u32_e32 vcc, 16, v0
	s_waitcnt lgkmcnt(0)
	s_barrier
	s_and_saveexec_b64 s[2:3], vcc
	s_cbranch_execz .LBB42_53
; %bb.52:
	ds_read2_b32 v[2:3], v1 offset1:16
	s_waitcnt lgkmcnt(0)
	v_cmp_lt_f32_e32 vcc, v2, v3
	s_nop 1
	v_cndmask_b32_e32 v2, v2, v3, vcc
	ds_write_b32 v1, v2
.LBB42_53:
	s_or_b64 exec, exec, s[2:3]
	v_cmp_gt_u32_e32 vcc, 8, v0
	;; [unrolled: 14-line block ×4, first 2 shown]
	s_waitcnt lgkmcnt(0)
	s_barrier
	s_and_saveexec_b64 s[2:3], vcc
	s_cbranch_execz .LBB42_59
; %bb.58:
	ds_read2_b32 v[2:3], v1 offset1:2
	s_waitcnt lgkmcnt(0)
	v_cmp_lt_f32_e32 vcc, v2, v3
	s_nop 1
	v_cndmask_b32_e32 v2, v2, v3, vcc
	ds_write_b32 v1, v2
.LBB42_59:
	s_or_b64 exec, exec, s[2:3]
	v_cmp_eq_u32_e32 vcc, 0, v0
	s_waitcnt lgkmcnt(0)
	s_barrier
	s_and_saveexec_b64 s[4:5], vcc
	s_cbranch_execz .LBB42_61
; %bb.60:
	v_mov_b32_e32 v2, 0
	ds_read_b64 v[0:1], v2
	s_waitcnt lgkmcnt(0)
	v_cmp_lt_f32_e64 s[2:3], v0, v1
	s_nop 1
	v_cndmask_b32_e64 v0, v0, v1, s[2:3]
	ds_write_b32 v2, v0
.LBB42_61:
	s_or_b64 exec, exec, s[4:5]
	s_waitcnt lgkmcnt(0)
	s_barrier
	s_and_saveexec_b64 s[2:3], vcc
	s_cbranch_execz .LBB42_65
; %bb.62:
	v_mbcnt_lo_u32_b32 v0, exec_lo, 0
	v_mbcnt_hi_u32_b32 v0, exec_hi, v0
	v_cmp_eq_u32_e32 vcc, 0, v0
	s_and_b64 exec, exec, vcc
	s_cbranch_execz .LBB42_65
; %bb.63:
	s_load_dwordx4 s[0:3], s[0:1], 0x70
	v_mov_b32_e32 v2, 0
	ds_read_b32 v0, v2
	s_waitcnt lgkmcnt(0)
	s_load_dword s6, s[2:3], 0x0
	s_mov_b64 s[2:3], 0
	s_waitcnt lgkmcnt(0)
	v_div_scale_f32 v1, s[4:5], s6, s6, v0
	v_rcp_f32_e32 v3, v1
	v_div_scale_f32 v4, vcc, v0, s6, v0
	s_load_dword s4, s[0:1], 0x0
	v_fma_f32 v5, -v1, v3, 1.0
	v_fmac_f32_e32 v3, v5, v3
	v_mul_f32_e32 v5, v4, v3
	v_fma_f32 v6, -v1, v5, v4
	v_fmac_f32_e32 v5, v6, v3
	v_fma_f32 v1, -v1, v5, v4
	v_div_fmas_f32 v1, v1, v3, v5
	v_div_fixup_f32 v0, v1, s6, v0
	s_waitcnt lgkmcnt(0)
	v_mov_b32_e32 v1, s4
	v_max_f32_e32 v3, v0, v0
.LBB42_64:                              ; =>This Inner Loop Header: Depth=1
	v_max_f32_e32 v0, v1, v1
	v_max_f32_e32 v0, v0, v3
	global_atomic_cmpswap v0, v2, v[0:1], s[0:1] sc0
	s_waitcnt vmcnt(0)
	v_cmp_eq_u32_e32 vcc, v0, v1
	s_or_b64 s[2:3], vcc, s[2:3]
	v_mov_b32_e32 v1, v0
	s_andn2_b64 exec, exec, s[2:3]
	s_cbranch_execnz .LBB42_64
.LBB42_65:
	s_endpgm
	.section	.rodata,"a",@progbits
	.p2align	6, 0x0
	.amdhsa_kernel _ZN9rocsparseL16kernel_calculateILi1024ELi16ELb1E21rocsparse_complex_numIfEiiEEvT4_T3_PKS4_S6_PKS3_PKT2_21rocsparse_index_base_S6_S6_S8_S6_S6_S8_S6_PS9_PNS_15floating_traitsIS9_E6data_tEPKSG_
		.amdhsa_group_segment_fixed_size 256
		.amdhsa_private_segment_fixed_size 0
		.amdhsa_kernarg_size 128
		.amdhsa_user_sgpr_count 2
		.amdhsa_user_sgpr_dispatch_ptr 0
		.amdhsa_user_sgpr_queue_ptr 0
		.amdhsa_user_sgpr_kernarg_segment_ptr 1
		.amdhsa_user_sgpr_dispatch_id 0
		.amdhsa_user_sgpr_kernarg_preload_length 0
		.amdhsa_user_sgpr_kernarg_preload_offset 0
		.amdhsa_user_sgpr_private_segment_size 0
		.amdhsa_uses_dynamic_stack 0
		.amdhsa_enable_private_segment 0
		.amdhsa_system_sgpr_workgroup_id_x 1
		.amdhsa_system_sgpr_workgroup_id_y 0
		.amdhsa_system_sgpr_workgroup_id_z 0
		.amdhsa_system_sgpr_workgroup_info 0
		.amdhsa_system_vgpr_workitem_id 0
		.amdhsa_next_free_vgpr 34
		.amdhsa_next_free_sgpr 58
		.amdhsa_accum_offset 36
		.amdhsa_reserve_vcc 1
		.amdhsa_float_round_mode_32 0
		.amdhsa_float_round_mode_16_64 0
		.amdhsa_float_denorm_mode_32 3
		.amdhsa_float_denorm_mode_16_64 3
		.amdhsa_dx10_clamp 1
		.amdhsa_ieee_mode 1
		.amdhsa_fp16_overflow 0
		.amdhsa_tg_split 0
		.amdhsa_exception_fp_ieee_invalid_op 0
		.amdhsa_exception_fp_denorm_src 0
		.amdhsa_exception_fp_ieee_div_zero 0
		.amdhsa_exception_fp_ieee_overflow 0
		.amdhsa_exception_fp_ieee_underflow 0
		.amdhsa_exception_fp_ieee_inexact 0
		.amdhsa_exception_int_div_zero 0
	.end_amdhsa_kernel
	.section	.text._ZN9rocsparseL16kernel_calculateILi1024ELi16ELb1E21rocsparse_complex_numIfEiiEEvT4_T3_PKS4_S6_PKS3_PKT2_21rocsparse_index_base_S6_S6_S8_S6_S6_S8_S6_PS9_PNS_15floating_traitsIS9_E6data_tEPKSG_,"axG",@progbits,_ZN9rocsparseL16kernel_calculateILi1024ELi16ELb1E21rocsparse_complex_numIfEiiEEvT4_T3_PKS4_S6_PKS3_PKT2_21rocsparse_index_base_S6_S6_S8_S6_S6_S8_S6_PS9_PNS_15floating_traitsIS9_E6data_tEPKSG_,comdat
.Lfunc_end42:
	.size	_ZN9rocsparseL16kernel_calculateILi1024ELi16ELb1E21rocsparse_complex_numIfEiiEEvT4_T3_PKS4_S6_PKS3_PKT2_21rocsparse_index_base_S6_S6_S8_S6_S6_S8_S6_PS9_PNS_15floating_traitsIS9_E6data_tEPKSG_, .Lfunc_end42-_ZN9rocsparseL16kernel_calculateILi1024ELi16ELb1E21rocsparse_complex_numIfEiiEEvT4_T3_PKS4_S6_PKS3_PKT2_21rocsparse_index_base_S6_S6_S8_S6_S6_S8_S6_PS9_PNS_15floating_traitsIS9_E6data_tEPKSG_
                                        ; -- End function
	.set _ZN9rocsparseL16kernel_calculateILi1024ELi16ELb1E21rocsparse_complex_numIfEiiEEvT4_T3_PKS4_S6_PKS3_PKT2_21rocsparse_index_base_S6_S6_S8_S6_S6_S8_S6_PS9_PNS_15floating_traitsIS9_E6data_tEPKSG_.num_vgpr, 34
	.set _ZN9rocsparseL16kernel_calculateILi1024ELi16ELb1E21rocsparse_complex_numIfEiiEEvT4_T3_PKS4_S6_PKS3_PKT2_21rocsparse_index_base_S6_S6_S8_S6_S6_S8_S6_PS9_PNS_15floating_traitsIS9_E6data_tEPKSG_.num_agpr, 0
	.set _ZN9rocsparseL16kernel_calculateILi1024ELi16ELb1E21rocsparse_complex_numIfEiiEEvT4_T3_PKS4_S6_PKS3_PKT2_21rocsparse_index_base_S6_S6_S8_S6_S6_S8_S6_PS9_PNS_15floating_traitsIS9_E6data_tEPKSG_.numbered_sgpr, 58
	.set _ZN9rocsparseL16kernel_calculateILi1024ELi16ELb1E21rocsparse_complex_numIfEiiEEvT4_T3_PKS4_S6_PKS3_PKT2_21rocsparse_index_base_S6_S6_S8_S6_S6_S8_S6_PS9_PNS_15floating_traitsIS9_E6data_tEPKSG_.num_named_barrier, 0
	.set _ZN9rocsparseL16kernel_calculateILi1024ELi16ELb1E21rocsparse_complex_numIfEiiEEvT4_T3_PKS4_S6_PKS3_PKT2_21rocsparse_index_base_S6_S6_S8_S6_S6_S8_S6_PS9_PNS_15floating_traitsIS9_E6data_tEPKSG_.private_seg_size, 0
	.set _ZN9rocsparseL16kernel_calculateILi1024ELi16ELb1E21rocsparse_complex_numIfEiiEEvT4_T3_PKS4_S6_PKS3_PKT2_21rocsparse_index_base_S6_S6_S8_S6_S6_S8_S6_PS9_PNS_15floating_traitsIS9_E6data_tEPKSG_.uses_vcc, 1
	.set _ZN9rocsparseL16kernel_calculateILi1024ELi16ELb1E21rocsparse_complex_numIfEiiEEvT4_T3_PKS4_S6_PKS3_PKT2_21rocsparse_index_base_S6_S6_S8_S6_S6_S8_S6_PS9_PNS_15floating_traitsIS9_E6data_tEPKSG_.uses_flat_scratch, 0
	.set _ZN9rocsparseL16kernel_calculateILi1024ELi16ELb1E21rocsparse_complex_numIfEiiEEvT4_T3_PKS4_S6_PKS3_PKT2_21rocsparse_index_base_S6_S6_S8_S6_S6_S8_S6_PS9_PNS_15floating_traitsIS9_E6data_tEPKSG_.has_dyn_sized_stack, 0
	.set _ZN9rocsparseL16kernel_calculateILi1024ELi16ELb1E21rocsparse_complex_numIfEiiEEvT4_T3_PKS4_S6_PKS3_PKT2_21rocsparse_index_base_S6_S6_S8_S6_S6_S8_S6_PS9_PNS_15floating_traitsIS9_E6data_tEPKSG_.has_recursion, 0
	.set _ZN9rocsparseL16kernel_calculateILi1024ELi16ELb1E21rocsparse_complex_numIfEiiEEvT4_T3_PKS4_S6_PKS3_PKT2_21rocsparse_index_base_S6_S6_S8_S6_S6_S8_S6_PS9_PNS_15floating_traitsIS9_E6data_tEPKSG_.has_indirect_call, 0
	.section	.AMDGPU.csdata,"",@progbits
; Kernel info:
; codeLenInByte = 3120
; TotalNumSgprs: 64
; NumVgprs: 34
; NumAgprs: 0
; TotalNumVgprs: 34
; ScratchSize: 0
; MemoryBound: 0
; FloatMode: 240
; IeeeMode: 1
; LDSByteSize: 256 bytes/workgroup (compile time only)
; SGPRBlocks: 7
; VGPRBlocks: 4
; NumSGPRsForWavesPerEU: 64
; NumVGPRsForWavesPerEU: 34
; AccumOffset: 36
; Occupancy: 8
; WaveLimiterHint : 1
; COMPUTE_PGM_RSRC2:SCRATCH_EN: 0
; COMPUTE_PGM_RSRC2:USER_SGPR: 2
; COMPUTE_PGM_RSRC2:TRAP_HANDLER: 0
; COMPUTE_PGM_RSRC2:TGID_X_EN: 1
; COMPUTE_PGM_RSRC2:TGID_Y_EN: 0
; COMPUTE_PGM_RSRC2:TGID_Z_EN: 0
; COMPUTE_PGM_RSRC2:TIDIG_COMP_CNT: 0
; COMPUTE_PGM_RSRC3_GFX90A:ACCUM_OFFSET: 8
; COMPUTE_PGM_RSRC3_GFX90A:TG_SPLIT: 0
	.section	.text._ZN9rocsparseL16kernel_calculateILi1024ELi32ELb1E21rocsparse_complex_numIfEiiEEvT4_T3_PKS4_S6_PKS3_PKT2_21rocsparse_index_base_S6_S6_S8_S6_S6_S8_S6_PS9_PNS_15floating_traitsIS9_E6data_tEPKSG_,"axG",@progbits,_ZN9rocsparseL16kernel_calculateILi1024ELi32ELb1E21rocsparse_complex_numIfEiiEEvT4_T3_PKS4_S6_PKS3_PKT2_21rocsparse_index_base_S6_S6_S8_S6_S6_S8_S6_PS9_PNS_15floating_traitsIS9_E6data_tEPKSG_,comdat
	.globl	_ZN9rocsparseL16kernel_calculateILi1024ELi32ELb1E21rocsparse_complex_numIfEiiEEvT4_T3_PKS4_S6_PKS3_PKT2_21rocsparse_index_base_S6_S6_S8_S6_S6_S8_S6_PS9_PNS_15floating_traitsIS9_E6data_tEPKSG_ ; -- Begin function _ZN9rocsparseL16kernel_calculateILi1024ELi32ELb1E21rocsparse_complex_numIfEiiEEvT4_T3_PKS4_S6_PKS3_PKT2_21rocsparse_index_base_S6_S6_S8_S6_S6_S8_S6_PS9_PNS_15floating_traitsIS9_E6data_tEPKSG_
	.p2align	8
	.type	_ZN9rocsparseL16kernel_calculateILi1024ELi32ELb1E21rocsparse_complex_numIfEiiEEvT4_T3_PKS4_S6_PKS3_PKT2_21rocsparse_index_base_S6_S6_S8_S6_S6_S8_S6_PS9_PNS_15floating_traitsIS9_E6data_tEPKSG_,@function
_ZN9rocsparseL16kernel_calculateILi1024ELi32ELb1E21rocsparse_complex_numIfEiiEEvT4_T3_PKS4_S6_PKS3_PKT2_21rocsparse_index_base_S6_S6_S8_S6_S6_S8_S6_PS9_PNS_15floating_traitsIS9_E6data_tEPKSG_: ; @_ZN9rocsparseL16kernel_calculateILi1024ELi32ELb1E21rocsparse_complex_numIfEiiEEvT4_T3_PKS4_S6_PKS3_PKT2_21rocsparse_index_base_S6_S6_S8_S6_S6_S8_S6_PS9_PNS_15floating_traitsIS9_E6data_tEPKSG_
; %bb.0:
	s_load_dword s33, s[0:1], 0x0
	v_lshrrev_b32_e32 v1, 5, v0
	v_lshl_or_b32 v23, s2, 10, v1
	v_and_b32_e32 v22, 31, v0
	v_mov_b32_e32 v24, 0
	s_waitcnt lgkmcnt(0)
	v_cmp_gt_i32_e32 vcc, s33, v23
	s_and_saveexec_b64 s[6:7], vcc
	s_cbranch_execz .LBB43_47
; %bb.1:
	s_load_dword s50, s[0:1], 0x28
	s_load_dwordx8 s[8:15], s[0:1], 0x50
	s_load_dwordx8 s[16:23], s[0:1], 0x30
	;; [unrolled: 1-line block ×3, first 2 shown]
	v_mov_b32_e32 v24, 0
	s_waitcnt lgkmcnt(0)
	v_subrev_u32_e32 v25, s50, v22
	s_mov_b32 s51, 0
	s_mov_b32 s52, 0xf800000
	v_mov_b32_e32 v26, 0x260
	s_movk_i32 s53, 0x1f8
	s_mov_b32 s54, 0x7f800000
	s_branch .LBB43_5
.LBB43_2:                               ;   in Loop: Header=BB43_5 Depth=1
	s_or_b64 exec, exec, s[38:39]
.LBB43_3:                               ;   in Loop: Header=BB43_5 Depth=1
	s_or_b64 exec, exec, s[36:37]
.LBB43_4:                               ;   in Loop: Header=BB43_5 Depth=1
	s_or_b64 exec, exec, s[34:35]
	s_add_i32 s51, s51, 1
	s_cmp_lg_u32 s51, 32
	s_cbranch_scc0 .LBB43_47
.LBB43_5:                               ; =>This Loop Header: Depth=1
                                        ;     Child Loop BB43_9 Depth 2
                                        ;       Child Loop BB43_12 Depth 3
                                        ;       Child Loop BB43_20 Depth 3
	;; [unrolled: 1-line block ×3, first 2 shown]
	v_lshl_add_u32 v2, s51, 5, v23
	v_cmp_gt_i32_e32 vcc, s33, v2
	s_and_saveexec_b64 s[34:35], vcc
	s_cbranch_execz .LBB43_4
; %bb.6:                                ;   in Loop: Header=BB43_5 Depth=1
	v_ashrrev_i32_e32 v3, 31, v2
	v_lshlrev_b64 v[6:7], 2, v[2:3]
	v_lshl_add_u64 v[4:5], s[26:27], 0, v[6:7]
	global_load_dword v3, v[4:5], off
	v_lshl_add_u64 v[4:5], s[24:25], 0, v[6:7]
	global_load_dword v4, v[4:5], off
	s_waitcnt vmcnt(1)
	v_subrev_u32_e32 v3, s50, v3
	s_waitcnt vmcnt(0)
	v_add_u32_e32 v4, v25, v4
	v_cmp_lt_i32_e32 vcc, v4, v3
	s_and_saveexec_b64 s[36:37], vcc
	s_cbranch_execz .LBB43_3
; %bb.7:                                ;   in Loop: Header=BB43_5 Depth=1
	v_lshl_add_u64 v[8:9], s[18:19], 0, v[6:7]
	v_lshl_add_u64 v[6:7], s[16:17], 0, v[6:7]
	global_load_dword v5, v[8:9], off
	s_mov_b64 s[38:39], 0
	global_load_dword v6, v[6:7], off
	s_waitcnt vmcnt(1)
	v_subrev_u32_e32 v27, s50, v5
	s_waitcnt vmcnt(0)
	v_subrev_u32_e32 v28, s50, v6
	v_cmp_lt_i32_e64 s[2:3], v6, v5
	s_branch .LBB43_9
.LBB43_8:                               ;   in Loop: Header=BB43_9 Depth=2
	s_or_b64 exec, exec, s[4:5]
	v_cmp_nlg_f32_e64 s[4:5], |v8|, s54
	v_cmp_gt_f32_e32 vcc, v24, v8
	v_add_u32_e32 v4, 32, v4
	s_or_b64 vcc, s[4:5], vcc
	v_cmp_ge_i32_e64 s[4:5], v4, v3
	s_or_b64 s[38:39], s[4:5], s[38:39]
	v_cndmask_b32_e32 v24, v8, v24, vcc
	s_andn2_b64 exec, exec, s[38:39]
	s_cbranch_execz .LBB43_2
.LBB43_9:                               ;   Parent Loop BB43_5 Depth=1
                                        ; =>  This Loop Header: Depth=2
                                        ;       Child Loop BB43_12 Depth 3
                                        ;       Child Loop BB43_20 Depth 3
	;; [unrolled: 1-line block ×3, first 2 shown]
	v_ashrrev_i32_e32 v5, 31, v4
	v_lshl_add_u64 v[6:7], v[4:5], 2, s[28:29]
	global_load_dword v29, v[6:7], off
	v_mov_b32_e32 v19, 0
	v_mov_b32_e32 v18, v19
	s_waitcnt vmcnt(0)
	v_subrev_u32_e32 v8, s50, v29
	v_ashrrev_i32_e32 v9, 31, v8
	v_lshlrev_b64 v[6:7], 2, v[8:9]
	v_lshl_add_u64 v[10:11], s[18:19], 0, v[6:7]
	global_load_dword v9, v[10:11], off
	v_lshl_add_u64 v[10:11], s[8:9], 0, v[6:7]
	v_lshl_add_u64 v[6:7], s[22:23], 0, v[6:7]
	global_load_dword v13, v[6:7], off
	v_lshl_add_u64 v[6:7], v[4:5], 3, s[30:31]
	global_load_dwordx2 v[16:17], v[6:7], off
	global_load_dword v12, v[10:11], off
	s_waitcnt vmcnt(3)
	v_subrev_u32_e32 v6, s50, v9
	v_ashrrev_i32_e32 v7, 31, v6
	v_lshl_add_u64 v[6:7], v[6:7], 3, s[14:15]
	global_load_dwordx2 v[10:11], v[6:7], off
	s_waitcnt vmcnt(3)
	v_subrev_u32_e32 v14, s50, v13
	s_waitcnt vmcnt(1)
	v_cmp_lt_i32_e32 vcc, v13, v12
	v_subrev_u32_e32 v9, s50, v12
	s_and_b64 s[4:5], s[2:3], vcc
	v_mov_b32_e32 v12, v28
	s_and_saveexec_b64 s[40:41], s[4:5]
	s_cbranch_execz .LBB43_15
; %bb.10:                               ;   in Loop: Header=BB43_9 Depth=2
	v_mov_b32_e32 v18, 0
	s_mov_b64 s[42:43], 0
	v_mov_b32_e32 v12, v28
	v_mov_b32_e32 v19, v18
	s_branch .LBB43_12
.LBB43_11:                              ;   in Loop: Header=BB43_12 Depth=3
	s_or_b64 exec, exec, s[4:5]
	v_cmp_le_i32_e32 vcc, v6, v7
	s_nop 1
	v_addc_co_u32_e32 v12, vcc, 0, v12, vcc
	v_cmp_ge_i32_e32 vcc, v6, v7
	s_nop 1
	v_addc_co_u32_e32 v14, vcc, 0, v14, vcc
	v_cmp_ge_i32_e32 vcc, v12, v27
	v_cmp_ge_i32_e64 s[4:5], v14, v9
	s_or_b64 s[4:5], vcc, s[4:5]
	s_and_b64 s[4:5], exec, s[4:5]
	s_or_b64 s[42:43], s[4:5], s[42:43]
	s_andn2_b64 exec, exec, s[42:43]
	s_cbranch_execz .LBB43_14
.LBB43_12:                              ;   Parent Loop BB43_5 Depth=1
                                        ;     Parent Loop BB43_9 Depth=2
                                        ; =>    This Inner Loop Header: Depth=3
	v_ashrrev_i32_e32 v13, 31, v12
	v_ashrrev_i32_e32 v15, 31, v14
	v_lshl_add_u64 v[6:7], v[12:13], 2, s[20:21]
	v_lshl_add_u64 v[20:21], v[14:15], 2, s[10:11]
	global_load_dword v6, v[6:7], off
	s_nop 0
	global_load_dword v7, v[20:21], off
	s_waitcnt vmcnt(0)
	v_cmp_eq_u32_e32 vcc, v6, v7
	s_and_saveexec_b64 s[4:5], vcc
	s_cbranch_execz .LBB43_11
; %bb.13:                               ;   in Loop: Header=BB43_12 Depth=3
	v_lshl_add_u64 v[20:21], v[14:15], 2, s[12:13]
	global_load_dword v20, v[20:21], off
	v_lshl_add_u64 v[30:31], v[12:13], 3, s[14:15]
	global_load_dwordx2 v[30:31], v[30:31], off
	s_waitcnt vmcnt(1)
	v_ashrrev_i32_e32 v21, 31, v20
	v_lshl_add_u64 v[20:21], v[20:21], 3, s[14:15]
	global_load_dwordx2 v[20:21], v[20:21], off
	s_waitcnt vmcnt(1)
	v_xor_b32_e32 v32, 0x80000000, v31
	v_mov_b32_e32 v33, v30
	s_waitcnt vmcnt(0)
	v_pk_fma_f32 v[18:19], v[30:31], v[20:21], v[18:19] op_sel_hi:[1,0,1]
	s_nop 0
	v_pk_fma_f32 v[18:19], v[32:33], v[20:21], v[18:19] op_sel:[0,1,0]
	s_branch .LBB43_11
.LBB43_14:                              ;   in Loop: Header=BB43_9 Depth=2
	s_or_b64 exec, exec, s[42:43]
.LBB43_15:                              ;   in Loop: Header=BB43_9 Depth=2
	s_or_b64 exec, exec, s[40:41]
	v_pk_add_f32 v[6:7], v[16:17], v[18:19] neg_lo:[0,1] neg_hi:[0,1]
	v_cmp_gt_i32_e32 vcc, v2, v8
	s_and_saveexec_b64 s[4:5], vcc
	s_cbranch_execz .LBB43_17
; %bb.16:                               ;   in Loop: Header=BB43_9 Depth=2
	s_waitcnt vmcnt(0)
	v_mul_f32_e32 v13, v11, v11
	v_fmac_f32_e32 v13, v10, v10
	v_div_scale_f32 v15, s[40:41], v13, v13, 1.0
	v_rcp_f32_e32 v20, v15
	v_div_scale_f32 v21, vcc, 1.0, v13, 1.0
	v_mov_b32_e32 v32, v11
	v_fma_f32 v30, -v15, v20, 1.0
	v_fmac_f32_e32 v20, v30, v20
	v_mul_f32_e32 v30, v21, v20
	v_fma_f32 v31, -v15, v30, v21
	v_fmac_f32_e32 v30, v31, v20
	v_fma_f32 v15, -v15, v30, v21
	v_div_fmas_f32 v15, v15, v20, v30
	v_xor_b32_e32 v31, 0x80000000, v6
	v_mov_b32_e32 v30, v7
	v_pk_mul_f32 v[30:31], v[32:33], v[30:31] op_sel_hi:[0,1]
	v_div_fixup_f32 v20, v15, v13, 1.0
	v_pk_fma_f32 v[6:7], v[6:7], v[10:11], v[30:31] op_sel_hi:[1,0,1]
	s_nop 0
	v_pk_mul_f32 v[6:7], v[20:21], v[6:7] op_sel_hi:[0,1]
.LBB43_17:                              ;   in Loop: Header=BB43_9 Depth=2
	s_or_b64 exec, exec, s[4:5]
	v_pk_add_f32 v[16:17], v[18:19], v[16:17] neg_lo:[0,1] neg_hi:[0,1]
	v_cmp_lt_i32_e32 vcc, v14, v9
	s_and_saveexec_b64 s[4:5], vcc
	s_cbranch_execz .LBB43_25
; %bb.18:                               ;   in Loop: Header=BB43_9 Depth=2
	v_ashrrev_i32_e32 v15, 31, v14
	v_lshl_add_u64 v[18:19], v[14:15], 2, s[10:11]
	s_mov_b64 s[40:41], 0
                                        ; implicit-def: $sgpr42_sgpr43
                                        ; implicit-def: $sgpr46_sgpr47
                                        ; implicit-def: $sgpr44_sgpr45
	s_branch .LBB43_20
.LBB43_19:                              ;   in Loop: Header=BB43_20 Depth=3
	s_or_b64 exec, exec, s[48:49]
	s_and_b64 s[48:49], exec, s[46:47]
	s_or_b64 s[40:41], s[48:49], s[40:41]
	s_andn2_b64 s[42:43], s[42:43], exec
	s_and_b64 s[48:49], s[44:45], exec
	s_or_b64 s[42:43], s[42:43], s[48:49]
	s_andn2_b64 exec, exec, s[40:41]
	s_cbranch_execz .LBB43_22
.LBB43_20:                              ;   Parent Loop BB43_5 Depth=1
                                        ;     Parent Loop BB43_9 Depth=2
                                        ; =>    This Inner Loop Header: Depth=3
	global_load_dword v13, v[18:19], off
	v_mov_b64_e32 v[20:21], v[14:15]
	s_or_b64 s[44:45], s[44:45], exec
	s_or_b64 s[46:47], s[46:47], exec
                                        ; implicit-def: $vgpr14_vgpr15
	s_waitcnt vmcnt(0)
	v_subrev_u32_e32 v13, s50, v13
	v_cmp_ne_u32_e32 vcc, v13, v2
	s_and_saveexec_b64 s[48:49], vcc
	s_cbranch_execz .LBB43_19
; %bb.21:                               ;   in Loop: Header=BB43_20 Depth=3
	v_lshl_add_u64 v[14:15], v[20:21], 0, 1
	v_cmp_ge_i32_e32 vcc, v14, v9
	s_andn2_b64 s[46:47], s[46:47], exec
	s_and_b64 s[56:57], vcc, exec
	v_lshl_add_u64 v[18:19], v[18:19], 0, 4
	s_andn2_b64 s[44:45], s[44:45], exec
	s_or_b64 s[46:47], s[46:47], s[56:57]
	s_branch .LBB43_19
.LBB43_22:                              ;   in Loop: Header=BB43_9 Depth=2
	s_or_b64 exec, exec, s[40:41]
	s_and_saveexec_b64 s[40:41], s[42:43]
	s_xor_b64 s[40:41], exec, s[40:41]
	s_cbranch_execz .LBB43_24
; %bb.23:                               ;   in Loop: Header=BB43_9 Depth=2
	v_lshl_add_u64 v[14:15], v[20:21], 2, s[12:13]
	global_load_dword v14, v[14:15], off
	s_waitcnt vmcnt(0)
	v_ashrrev_i32_e32 v15, 31, v14
	v_lshl_add_u64 v[14:15], v[14:15], 3, s[14:15]
	global_load_dwordx2 v[14:15], v[14:15], off
	s_waitcnt vmcnt(0)
	v_pk_add_f32 v[16:17], v[16:17], v[14:15]
.LBB43_24:                              ;   in Loop: Header=BB43_9 Depth=2
	s_or_b64 exec, exec, s[40:41]
.LBB43_25:                              ;   in Loop: Header=BB43_9 Depth=2
	s_or_b64 exec, exec, s[4:5]
	v_cmp_lt_i32_e32 vcc, v12, v27
	s_and_saveexec_b64 s[4:5], vcc
	s_cbranch_execz .LBB43_33
; %bb.26:                               ;   in Loop: Header=BB43_9 Depth=2
	v_ashrrev_i32_e32 v13, 31, v12
	v_lshl_add_u64 v[14:15], v[12:13], 2, s[20:21]
	s_mov_b64 s[40:41], 0
                                        ; implicit-def: $sgpr42_sgpr43
                                        ; implicit-def: $sgpr46_sgpr47
                                        ; implicit-def: $sgpr44_sgpr45
	s_branch .LBB43_28
.LBB43_27:                              ;   in Loop: Header=BB43_28 Depth=3
	s_or_b64 exec, exec, s[48:49]
	s_and_b64 s[48:49], exec, s[46:47]
	s_or_b64 s[40:41], s[48:49], s[40:41]
	s_andn2_b64 s[42:43], s[42:43], exec
	s_and_b64 s[48:49], s[44:45], exec
	s_or_b64 s[42:43], s[42:43], s[48:49]
	s_andn2_b64 exec, exec, s[40:41]
	s_cbranch_execz .LBB43_30
.LBB43_28:                              ;   Parent Loop BB43_5 Depth=1
                                        ;     Parent Loop BB43_9 Depth=2
                                        ; =>    This Inner Loop Header: Depth=3
	global_load_dword v9, v[14:15], off
	v_mov_b64_e32 v[18:19], v[12:13]
	s_or_b64 s[44:45], s[44:45], exec
	s_or_b64 s[46:47], s[46:47], exec
                                        ; implicit-def: $vgpr12_vgpr13
	s_waitcnt vmcnt(0)
	v_cmp_ne_u32_e32 vcc, v9, v29
	s_and_saveexec_b64 s[48:49], vcc
	s_cbranch_execz .LBB43_27
; %bb.29:                               ;   in Loop: Header=BB43_28 Depth=3
	v_lshl_add_u64 v[12:13], v[18:19], 0, 1
	v_cmp_ge_i32_e32 vcc, v12, v27
	s_andn2_b64 s[46:47], s[46:47], exec
	s_and_b64 s[56:57], vcc, exec
	v_lshl_add_u64 v[14:15], v[14:15], 0, 4
	s_andn2_b64 s[44:45], s[44:45], exec
	s_or_b64 s[46:47], s[46:47], s[56:57]
	s_branch .LBB43_27
.LBB43_30:                              ;   in Loop: Header=BB43_9 Depth=2
	s_or_b64 exec, exec, s[40:41]
	s_and_saveexec_b64 s[40:41], s[42:43]
	s_xor_b64 s[40:41], exec, s[40:41]
	s_cbranch_execz .LBB43_32
; %bb.31:                               ;   in Loop: Header=BB43_9 Depth=2
	v_lshl_add_u64 v[12:13], v[18:19], 3, s[14:15]
	global_load_dwordx2 v[12:13], v[12:13], off
	s_waitcnt vmcnt(0)
	v_xor_b32_e32 v14, 0x80000000, v13
	v_pk_fma_f32 v[16:17], v[12:13], v[10:11], v[16:17] op_sel_hi:[1,0,1]
	v_mov_b32_e32 v15, v12
	v_mov_b32_e32 v12, v11
	v_pk_fma_f32 v[16:17], v[14:15], v[12:13], v[16:17] op_sel_hi:[1,0,1]
.LBB43_32:                              ;   in Loop: Header=BB43_9 Depth=2
	s_or_b64 exec, exec, s[40:41]
.LBB43_33:                              ;   in Loop: Header=BB43_9 Depth=2
	s_or_b64 exec, exec, s[4:5]
	s_waitcnt vmcnt(0)
	v_add_f32_e32 v9, v10, v16
	v_cmp_eq_u32_e32 vcc, v2, v8
	v_add_f32_e32 v10, v11, v17
	s_nop 0
	v_cndmask_b32_e32 v8, v16, v9, vcc
	v_cndmask_b32_e32 v11, v17, v10, vcc
	v_cmp_gt_f32_e32 vcc, 0, v8
	s_nop 1
	v_cndmask_b32_e64 v9, v8, -v8, vcc
	v_cmp_gt_f32_e32 vcc, 0, v11
                                        ; implicit-def: $vgpr8
	s_nop 1
	v_cndmask_b32_e64 v10, v11, -v11, vcc
	v_cmp_ngt_f32_e32 vcc, v9, v10
	s_and_saveexec_b64 s[4:5], vcc
	s_xor_b64 s[40:41], exec, s[4:5]
	s_cbranch_execz .LBB43_37
; %bb.34:                               ;   in Loop: Header=BB43_9 Depth=2
	v_mov_b32_e32 v8, 0
	v_cmp_neq_f32_e32 vcc, 0, v11
	s_and_saveexec_b64 s[42:43], vcc
	s_cbranch_execz .LBB43_36
; %bb.35:                               ;   in Loop: Header=BB43_9 Depth=2
	v_div_scale_f32 v8, s[4:5], v10, v10, v9
	v_rcp_f32_e32 v11, v8
	v_div_scale_f32 v12, vcc, v9, v10, v9
	v_fma_f32 v13, -v8, v11, 1.0
	v_fmac_f32_e32 v11, v13, v11
	v_mul_f32_e32 v13, v12, v11
	v_fma_f32 v14, -v8, v13, v12
	v_fmac_f32_e32 v13, v14, v11
	v_fma_f32 v8, -v8, v13, v12
	v_div_fmas_f32 v8, v8, v11, v13
	v_div_fixup_f32 v8, v8, v10, v9
	v_fma_f32 v8, v8, v8, 1.0
	v_mul_f32_e32 v9, 0x4f800000, v8
	v_cmp_gt_f32_e32 vcc, s52, v8
	s_nop 1
	v_cndmask_b32_e32 v8, v8, v9, vcc
	v_sqrt_f32_e32 v9, v8
	s_nop 0
	v_add_u32_e32 v11, -1, v9
	v_fma_f32 v12, -v11, v9, v8
	v_cmp_ge_f32_e64 s[4:5], 0, v12
	v_add_u32_e32 v12, 1, v9
	s_nop 0
	v_cndmask_b32_e64 v11, v9, v11, s[4:5]
	v_fma_f32 v9, -v12, v9, v8
	v_cmp_lt_f32_e64 s[4:5], 0, v9
	s_nop 1
	v_cndmask_b32_e64 v9, v11, v12, s[4:5]
	v_mul_f32_e32 v11, 0x37800000, v9
	v_cndmask_b32_e32 v9, v9, v11, vcc
	v_cmp_class_f32_e32 vcc, v8, v26
	s_nop 1
	v_cndmask_b32_e32 v8, v9, v8, vcc
	v_mul_f32_e32 v8, v10, v8
.LBB43_36:                              ;   in Loop: Header=BB43_9 Depth=2
	s_or_b64 exec, exec, s[42:43]
                                        ; implicit-def: $vgpr9
                                        ; implicit-def: $vgpr10
.LBB43_37:                              ;   in Loop: Header=BB43_9 Depth=2
	s_andn2_saveexec_b64 s[40:41], s[40:41]
	s_cbranch_execz .LBB43_39
; %bb.38:                               ;   in Loop: Header=BB43_9 Depth=2
	v_div_scale_f32 v8, s[4:5], v9, v9, v10
	v_rcp_f32_e32 v11, v8
	v_div_scale_f32 v12, vcc, v10, v9, v10
	v_fma_f32 v13, -v8, v11, 1.0
	v_fmac_f32_e32 v11, v13, v11
	v_mul_f32_e32 v13, v12, v11
	v_fma_f32 v14, -v8, v13, v12
	v_fmac_f32_e32 v13, v14, v11
	v_fma_f32 v8, -v8, v13, v12
	v_div_fmas_f32 v8, v8, v11, v13
	v_div_fixup_f32 v8, v8, v9, v10
	v_fma_f32 v8, v8, v8, 1.0
	v_mul_f32_e32 v10, 0x4f800000, v8
	v_cmp_gt_f32_e32 vcc, s52, v8
	s_nop 1
	v_cndmask_b32_e32 v8, v8, v10, vcc
	v_sqrt_f32_e32 v10, v8
	s_nop 0
	v_add_u32_e32 v11, -1, v10
	v_fma_f32 v12, -v11, v10, v8
	v_cmp_ge_f32_e64 s[4:5], 0, v12
	v_add_u32_e32 v12, 1, v10
	s_nop 0
	v_cndmask_b32_e64 v11, v10, v11, s[4:5]
	v_fma_f32 v10, -v12, v10, v8
	v_cmp_lt_f32_e64 s[4:5], 0, v10
	s_nop 1
	v_cndmask_b32_e64 v10, v11, v12, s[4:5]
	v_mul_f32_e32 v11, 0x37800000, v10
	v_cndmask_b32_e32 v10, v10, v11, vcc
	v_cmp_class_f32_e32 vcc, v8, v26
	s_nop 1
	v_cndmask_b32_e32 v8, v10, v8, vcc
	v_mul_f32_e32 v8, v9, v8
.LBB43_39:                              ;   in Loop: Header=BB43_9 Depth=2
	s_or_b64 exec, exec, s[40:41]
	v_cmp_gt_f32_e32 vcc, 0, v6
                                        ; implicit-def: $vgpr11
	s_nop 1
	v_cndmask_b32_e64 v9, v6, -v6, vcc
	v_cmp_gt_f32_e32 vcc, 0, v7
	s_nop 1
	v_cndmask_b32_e64 v10, v7, -v7, vcc
	v_cmp_ngt_f32_e32 vcc, v9, v10
	s_and_saveexec_b64 s[4:5], vcc
	s_xor_b64 s[40:41], exec, s[4:5]
	s_cbranch_execnz .LBB43_42
; %bb.40:                               ;   in Loop: Header=BB43_9 Depth=2
	s_andn2_saveexec_b64 s[40:41], s[40:41]
	s_cbranch_execnz .LBB43_45
.LBB43_41:                              ;   in Loop: Header=BB43_9 Depth=2
	s_or_b64 exec, exec, s[40:41]
	v_cmp_class_f32_e64 s[40:41], v11, s53
	s_and_saveexec_b64 s[4:5], s[40:41]
	s_cbranch_execz .LBB43_8
	s_branch .LBB43_46
.LBB43_42:                              ;   in Loop: Header=BB43_9 Depth=2
	v_mov_b32_e32 v11, 0
	v_cmp_neq_f32_e32 vcc, 0, v7
	s_and_saveexec_b64 s[42:43], vcc
	s_cbranch_execz .LBB43_44
; %bb.43:                               ;   in Loop: Header=BB43_9 Depth=2
	v_div_scale_f32 v11, s[4:5], v10, v10, v9
	v_rcp_f32_e32 v12, v11
	v_div_scale_f32 v13, vcc, v9, v10, v9
	v_fma_f32 v14, -v11, v12, 1.0
	v_fmac_f32_e32 v12, v14, v12
	v_mul_f32_e32 v14, v13, v12
	v_fma_f32 v15, -v11, v14, v13
	v_fmac_f32_e32 v14, v15, v12
	v_fma_f32 v11, -v11, v14, v13
	v_div_fmas_f32 v11, v11, v12, v14
	v_div_fixup_f32 v9, v11, v10, v9
	v_fma_f32 v9, v9, v9, 1.0
	v_mul_f32_e32 v11, 0x4f800000, v9
	v_cmp_gt_f32_e32 vcc, s52, v9
	s_nop 1
	v_cndmask_b32_e32 v9, v9, v11, vcc
	v_sqrt_f32_e32 v11, v9
	s_nop 0
	v_add_u32_e32 v12, -1, v11
	v_fma_f32 v13, -v12, v11, v9
	v_cmp_ge_f32_e64 s[4:5], 0, v13
	v_add_u32_e32 v13, 1, v11
	s_nop 0
	v_cndmask_b32_e64 v12, v11, v12, s[4:5]
	v_fma_f32 v11, -v13, v11, v9
	v_cmp_lt_f32_e64 s[4:5], 0, v11
	s_nop 1
	v_cndmask_b32_e64 v11, v12, v13, s[4:5]
	v_mul_f32_e32 v12, 0x37800000, v11
	v_cndmask_b32_e32 v11, v11, v12, vcc
	v_cmp_class_f32_e32 vcc, v9, v26
	s_nop 1
	v_cndmask_b32_e32 v9, v11, v9, vcc
	v_mul_f32_e32 v11, v10, v9
.LBB43_44:                              ;   in Loop: Header=BB43_9 Depth=2
	s_or_b64 exec, exec, s[42:43]
                                        ; implicit-def: $vgpr9
                                        ; implicit-def: $vgpr10
	s_andn2_saveexec_b64 s[40:41], s[40:41]
	s_cbranch_execz .LBB43_41
.LBB43_45:                              ;   in Loop: Header=BB43_9 Depth=2
	v_div_scale_f32 v11, s[4:5], v9, v9, v10
	v_rcp_f32_e32 v12, v11
	v_div_scale_f32 v13, vcc, v10, v9, v10
	v_fma_f32 v14, -v11, v12, 1.0
	v_fmac_f32_e32 v12, v14, v12
	v_mul_f32_e32 v14, v13, v12
	v_fma_f32 v15, -v11, v14, v13
	v_fmac_f32_e32 v14, v15, v12
	v_fma_f32 v11, -v11, v14, v13
	v_div_fmas_f32 v11, v11, v12, v14
	v_div_fixup_f32 v10, v11, v9, v10
	v_fma_f32 v10, v10, v10, 1.0
	v_mul_f32_e32 v11, 0x4f800000, v10
	v_cmp_gt_f32_e32 vcc, s52, v10
	s_nop 1
	v_cndmask_b32_e32 v10, v10, v11, vcc
	v_sqrt_f32_e32 v11, v10
	s_nop 0
	v_add_u32_e32 v12, -1, v11
	v_fma_f32 v13, -v12, v11, v10
	v_cmp_ge_f32_e64 s[4:5], 0, v13
	v_add_u32_e32 v13, 1, v11
	s_nop 0
	v_cndmask_b32_e64 v12, v11, v12, s[4:5]
	v_fma_f32 v11, -v13, v11, v10
	v_cmp_lt_f32_e64 s[4:5], 0, v11
	s_nop 1
	v_cndmask_b32_e64 v11, v12, v13, s[4:5]
	v_mul_f32_e32 v12, 0x37800000, v11
	v_cndmask_b32_e32 v11, v11, v12, vcc
	v_cmp_class_f32_e32 vcc, v10, v26
	s_nop 1
	v_cndmask_b32_e32 v10, v11, v10, vcc
	v_mul_f32_e32 v11, v9, v10
	s_or_b64 exec, exec, s[40:41]
	v_cmp_class_f32_e64 s[40:41], v11, s53
	s_and_saveexec_b64 s[4:5], s[40:41]
	s_cbranch_execz .LBB43_8
.LBB43_46:                              ;   in Loop: Header=BB43_9 Depth=2
	v_lshl_add_u64 v[10:11], v[4:5], 3, s[14:15]
	global_store_dwordx2 v[10:11], v[6:7], off
	s_branch .LBB43_8
.LBB43_47:
	s_or_b64 exec, exec, s[6:7]
	v_mov_b32_dpp v2, v24 row_shr:1 row_mask:0xf bank_mask:0xf
	v_cmp_lt_f32_e32 vcc, v24, v2
	s_nop 1
	v_cndmask_b32_e32 v2, v24, v2, vcc
	s_nop 1
	v_mov_b32_dpp v3, v2 row_shr:2 row_mask:0xf bank_mask:0xf
	v_cmp_lt_f32_e32 vcc, v2, v3
	s_nop 1
	v_cndmask_b32_e32 v2, v2, v3, vcc
	s_nop 1
	v_mov_b32_dpp v3, v2 row_shr:4 row_mask:0xf bank_mask:0xe
	v_cmp_lt_f32_e32 vcc, v2, v3
	s_nop 1
	v_cndmask_b32_e32 v2, v2, v3, vcc
	s_nop 1
	v_mov_b32_dpp v3, v2 row_shr:8 row_mask:0xf bank_mask:0xc
	v_cmp_lt_f32_e32 vcc, v2, v3
	s_nop 1
	v_cndmask_b32_e32 v2, v2, v3, vcc
	v_cmp_eq_u32_e32 vcc, 31, v22
	s_nop 0
	v_mov_b32_dpp v3, v2 row_bcast:15 row_mask:0xa bank_mask:0xf
	s_and_saveexec_b64 s[2:3], vcc
; %bb.48:
	v_cmp_lt_f32_e32 vcc, v2, v3
	v_lshlrev_b32_e32 v1, 2, v1
	s_nop 0
	v_cndmask_b32_e32 v2, v2, v3, vcc
	ds_write_b32 v1, v2
; %bb.49:
	s_or_b64 exec, exec, s[2:3]
	v_cmp_gt_u32_e32 vcc, 16, v0
	v_lshlrev_b32_e32 v1, 2, v0
	s_waitcnt lgkmcnt(0)
	s_barrier
	s_and_saveexec_b64 s[2:3], vcc
	s_cbranch_execz .LBB43_51
; %bb.50:
	ds_read2_b32 v[2:3], v1 offset1:16
	s_waitcnt lgkmcnt(0)
	v_cmp_lt_f32_e32 vcc, v2, v3
	s_nop 1
	v_cndmask_b32_e32 v2, v2, v3, vcc
	ds_write_b32 v1, v2
.LBB43_51:
	s_or_b64 exec, exec, s[2:3]
	v_cmp_gt_u32_e32 vcc, 8, v0
	s_waitcnt lgkmcnt(0)
	s_barrier
	s_and_saveexec_b64 s[2:3], vcc
	s_cbranch_execz .LBB43_53
; %bb.52:
	ds_read2_b32 v[2:3], v1 offset1:8
	s_waitcnt lgkmcnt(0)
	v_cmp_lt_f32_e32 vcc, v2, v3
	s_nop 1
	v_cndmask_b32_e32 v2, v2, v3, vcc
	ds_write_b32 v1, v2
.LBB43_53:
	s_or_b64 exec, exec, s[2:3]
	v_cmp_gt_u32_e32 vcc, 4, v0
	;; [unrolled: 14-line block ×3, first 2 shown]
	s_waitcnt lgkmcnt(0)
	s_barrier
	s_and_saveexec_b64 s[2:3], vcc
	s_cbranch_execz .LBB43_57
; %bb.56:
	ds_read2_b32 v[2:3], v1 offset1:2
	s_waitcnt lgkmcnt(0)
	v_cmp_lt_f32_e32 vcc, v2, v3
	s_nop 1
	v_cndmask_b32_e32 v2, v2, v3, vcc
	ds_write_b32 v1, v2
.LBB43_57:
	s_or_b64 exec, exec, s[2:3]
	v_cmp_eq_u32_e32 vcc, 0, v0
	s_waitcnt lgkmcnt(0)
	s_barrier
	s_and_saveexec_b64 s[4:5], vcc
	s_cbranch_execz .LBB43_59
; %bb.58:
	v_mov_b32_e32 v2, 0
	ds_read_b64 v[0:1], v2
	s_waitcnt lgkmcnt(0)
	v_cmp_lt_f32_e64 s[2:3], v0, v1
	s_nop 1
	v_cndmask_b32_e64 v0, v0, v1, s[2:3]
	ds_write_b32 v2, v0
.LBB43_59:
	s_or_b64 exec, exec, s[4:5]
	s_waitcnt lgkmcnt(0)
	s_barrier
	s_and_saveexec_b64 s[2:3], vcc
	s_cbranch_execz .LBB43_63
; %bb.60:
	v_mbcnt_lo_u32_b32 v0, exec_lo, 0
	v_mbcnt_hi_u32_b32 v0, exec_hi, v0
	v_cmp_eq_u32_e32 vcc, 0, v0
	s_and_b64 exec, exec, vcc
	s_cbranch_execz .LBB43_63
; %bb.61:
	s_load_dwordx4 s[0:3], s[0:1], 0x70
	v_mov_b32_e32 v2, 0
	ds_read_b32 v0, v2
	s_waitcnt lgkmcnt(0)
	s_load_dword s6, s[2:3], 0x0
	s_mov_b64 s[2:3], 0
	s_waitcnt lgkmcnt(0)
	v_div_scale_f32 v1, s[4:5], s6, s6, v0
	v_rcp_f32_e32 v3, v1
	v_div_scale_f32 v4, vcc, v0, s6, v0
	s_load_dword s4, s[0:1], 0x0
	v_fma_f32 v5, -v1, v3, 1.0
	v_fmac_f32_e32 v3, v5, v3
	v_mul_f32_e32 v5, v4, v3
	v_fma_f32 v6, -v1, v5, v4
	v_fmac_f32_e32 v5, v6, v3
	v_fma_f32 v1, -v1, v5, v4
	v_div_fmas_f32 v1, v1, v3, v5
	v_div_fixup_f32 v0, v1, s6, v0
	s_waitcnt lgkmcnt(0)
	v_mov_b32_e32 v1, s4
	v_max_f32_e32 v3, v0, v0
.LBB43_62:                              ; =>This Inner Loop Header: Depth=1
	v_max_f32_e32 v0, v1, v1
	v_max_f32_e32 v0, v0, v3
	global_atomic_cmpswap v0, v2, v[0:1], s[0:1] sc0
	s_waitcnt vmcnt(0)
	v_cmp_eq_u32_e32 vcc, v0, v1
	s_or_b64 s[2:3], vcc, s[2:3]
	v_mov_b32_e32 v1, v0
	s_andn2_b64 exec, exec, s[2:3]
	s_cbranch_execnz .LBB43_62
.LBB43_63:
	s_endpgm
	.section	.rodata,"a",@progbits
	.p2align	6, 0x0
	.amdhsa_kernel _ZN9rocsparseL16kernel_calculateILi1024ELi32ELb1E21rocsparse_complex_numIfEiiEEvT4_T3_PKS4_S6_PKS3_PKT2_21rocsparse_index_base_S6_S6_S8_S6_S6_S8_S6_PS9_PNS_15floating_traitsIS9_E6data_tEPKSG_
		.amdhsa_group_segment_fixed_size 128
		.amdhsa_private_segment_fixed_size 0
		.amdhsa_kernarg_size 128
		.amdhsa_user_sgpr_count 2
		.amdhsa_user_sgpr_dispatch_ptr 0
		.amdhsa_user_sgpr_queue_ptr 0
		.amdhsa_user_sgpr_kernarg_segment_ptr 1
		.amdhsa_user_sgpr_dispatch_id 0
		.amdhsa_user_sgpr_kernarg_preload_length 0
		.amdhsa_user_sgpr_kernarg_preload_offset 0
		.amdhsa_user_sgpr_private_segment_size 0
		.amdhsa_uses_dynamic_stack 0
		.amdhsa_enable_private_segment 0
		.amdhsa_system_sgpr_workgroup_id_x 1
		.amdhsa_system_sgpr_workgroup_id_y 0
		.amdhsa_system_sgpr_workgroup_id_z 0
		.amdhsa_system_sgpr_workgroup_info 0
		.amdhsa_system_vgpr_workitem_id 0
		.amdhsa_next_free_vgpr 34
		.amdhsa_next_free_sgpr 58
		.amdhsa_accum_offset 36
		.amdhsa_reserve_vcc 1
		.amdhsa_float_round_mode_32 0
		.amdhsa_float_round_mode_16_64 0
		.amdhsa_float_denorm_mode_32 3
		.amdhsa_float_denorm_mode_16_64 3
		.amdhsa_dx10_clamp 1
		.amdhsa_ieee_mode 1
		.amdhsa_fp16_overflow 0
		.amdhsa_tg_split 0
		.amdhsa_exception_fp_ieee_invalid_op 0
		.amdhsa_exception_fp_denorm_src 0
		.amdhsa_exception_fp_ieee_div_zero 0
		.amdhsa_exception_fp_ieee_overflow 0
		.amdhsa_exception_fp_ieee_underflow 0
		.amdhsa_exception_fp_ieee_inexact 0
		.amdhsa_exception_int_div_zero 0
	.end_amdhsa_kernel
	.section	.text._ZN9rocsparseL16kernel_calculateILi1024ELi32ELb1E21rocsparse_complex_numIfEiiEEvT4_T3_PKS4_S6_PKS3_PKT2_21rocsparse_index_base_S6_S6_S8_S6_S6_S8_S6_PS9_PNS_15floating_traitsIS9_E6data_tEPKSG_,"axG",@progbits,_ZN9rocsparseL16kernel_calculateILi1024ELi32ELb1E21rocsparse_complex_numIfEiiEEvT4_T3_PKS4_S6_PKS3_PKT2_21rocsparse_index_base_S6_S6_S8_S6_S6_S8_S6_PS9_PNS_15floating_traitsIS9_E6data_tEPKSG_,comdat
.Lfunc_end43:
	.size	_ZN9rocsparseL16kernel_calculateILi1024ELi32ELb1E21rocsparse_complex_numIfEiiEEvT4_T3_PKS4_S6_PKS3_PKT2_21rocsparse_index_base_S6_S6_S8_S6_S6_S8_S6_PS9_PNS_15floating_traitsIS9_E6data_tEPKSG_, .Lfunc_end43-_ZN9rocsparseL16kernel_calculateILi1024ELi32ELb1E21rocsparse_complex_numIfEiiEEvT4_T3_PKS4_S6_PKS3_PKT2_21rocsparse_index_base_S6_S6_S8_S6_S6_S8_S6_PS9_PNS_15floating_traitsIS9_E6data_tEPKSG_
                                        ; -- End function
	.set _ZN9rocsparseL16kernel_calculateILi1024ELi32ELb1E21rocsparse_complex_numIfEiiEEvT4_T3_PKS4_S6_PKS3_PKT2_21rocsparse_index_base_S6_S6_S8_S6_S6_S8_S6_PS9_PNS_15floating_traitsIS9_E6data_tEPKSG_.num_vgpr, 34
	.set _ZN9rocsparseL16kernel_calculateILi1024ELi32ELb1E21rocsparse_complex_numIfEiiEEvT4_T3_PKS4_S6_PKS3_PKT2_21rocsparse_index_base_S6_S6_S8_S6_S6_S8_S6_PS9_PNS_15floating_traitsIS9_E6data_tEPKSG_.num_agpr, 0
	.set _ZN9rocsparseL16kernel_calculateILi1024ELi32ELb1E21rocsparse_complex_numIfEiiEEvT4_T3_PKS4_S6_PKS3_PKT2_21rocsparse_index_base_S6_S6_S8_S6_S6_S8_S6_PS9_PNS_15floating_traitsIS9_E6data_tEPKSG_.numbered_sgpr, 58
	.set _ZN9rocsparseL16kernel_calculateILi1024ELi32ELb1E21rocsparse_complex_numIfEiiEEvT4_T3_PKS4_S6_PKS3_PKT2_21rocsparse_index_base_S6_S6_S8_S6_S6_S8_S6_PS9_PNS_15floating_traitsIS9_E6data_tEPKSG_.num_named_barrier, 0
	.set _ZN9rocsparseL16kernel_calculateILi1024ELi32ELb1E21rocsparse_complex_numIfEiiEEvT4_T3_PKS4_S6_PKS3_PKT2_21rocsparse_index_base_S6_S6_S8_S6_S6_S8_S6_PS9_PNS_15floating_traitsIS9_E6data_tEPKSG_.private_seg_size, 0
	.set _ZN9rocsparseL16kernel_calculateILi1024ELi32ELb1E21rocsparse_complex_numIfEiiEEvT4_T3_PKS4_S6_PKS3_PKT2_21rocsparse_index_base_S6_S6_S8_S6_S6_S8_S6_PS9_PNS_15floating_traitsIS9_E6data_tEPKSG_.uses_vcc, 1
	.set _ZN9rocsparseL16kernel_calculateILi1024ELi32ELb1E21rocsparse_complex_numIfEiiEEvT4_T3_PKS4_S6_PKS3_PKT2_21rocsparse_index_base_S6_S6_S8_S6_S6_S8_S6_PS9_PNS_15floating_traitsIS9_E6data_tEPKSG_.uses_flat_scratch, 0
	.set _ZN9rocsparseL16kernel_calculateILi1024ELi32ELb1E21rocsparse_complex_numIfEiiEEvT4_T3_PKS4_S6_PKS3_PKT2_21rocsparse_index_base_S6_S6_S8_S6_S6_S8_S6_PS9_PNS_15floating_traitsIS9_E6data_tEPKSG_.has_dyn_sized_stack, 0
	.set _ZN9rocsparseL16kernel_calculateILi1024ELi32ELb1E21rocsparse_complex_numIfEiiEEvT4_T3_PKS4_S6_PKS3_PKT2_21rocsparse_index_base_S6_S6_S8_S6_S6_S8_S6_PS9_PNS_15floating_traitsIS9_E6data_tEPKSG_.has_recursion, 0
	.set _ZN9rocsparseL16kernel_calculateILi1024ELi32ELb1E21rocsparse_complex_numIfEiiEEvT4_T3_PKS4_S6_PKS3_PKT2_21rocsparse_index_base_S6_S6_S8_S6_S6_S8_S6_PS9_PNS_15floating_traitsIS9_E6data_tEPKSG_.has_indirect_call, 0
	.section	.AMDGPU.csdata,"",@progbits
; Kernel info:
; codeLenInByte = 3088
; TotalNumSgprs: 64
; NumVgprs: 34
; NumAgprs: 0
; TotalNumVgprs: 34
; ScratchSize: 0
; MemoryBound: 0
; FloatMode: 240
; IeeeMode: 1
; LDSByteSize: 128 bytes/workgroup (compile time only)
; SGPRBlocks: 7
; VGPRBlocks: 4
; NumSGPRsForWavesPerEU: 64
; NumVGPRsForWavesPerEU: 34
; AccumOffset: 36
; Occupancy: 8
; WaveLimiterHint : 1
; COMPUTE_PGM_RSRC2:SCRATCH_EN: 0
; COMPUTE_PGM_RSRC2:USER_SGPR: 2
; COMPUTE_PGM_RSRC2:TRAP_HANDLER: 0
; COMPUTE_PGM_RSRC2:TGID_X_EN: 1
; COMPUTE_PGM_RSRC2:TGID_Y_EN: 0
; COMPUTE_PGM_RSRC2:TGID_Z_EN: 0
; COMPUTE_PGM_RSRC2:TIDIG_COMP_CNT: 0
; COMPUTE_PGM_RSRC3_GFX90A:ACCUM_OFFSET: 8
; COMPUTE_PGM_RSRC3_GFX90A:TG_SPLIT: 0
	.section	.text._ZN9rocsparseL16kernel_calculateILi1024ELi64ELb1E21rocsparse_complex_numIfEiiEEvT4_T3_PKS4_S6_PKS3_PKT2_21rocsparse_index_base_S6_S6_S8_S6_S6_S8_S6_PS9_PNS_15floating_traitsIS9_E6data_tEPKSG_,"axG",@progbits,_ZN9rocsparseL16kernel_calculateILi1024ELi64ELb1E21rocsparse_complex_numIfEiiEEvT4_T3_PKS4_S6_PKS3_PKT2_21rocsparse_index_base_S6_S6_S8_S6_S6_S8_S6_PS9_PNS_15floating_traitsIS9_E6data_tEPKSG_,comdat
	.globl	_ZN9rocsparseL16kernel_calculateILi1024ELi64ELb1E21rocsparse_complex_numIfEiiEEvT4_T3_PKS4_S6_PKS3_PKT2_21rocsparse_index_base_S6_S6_S8_S6_S6_S8_S6_PS9_PNS_15floating_traitsIS9_E6data_tEPKSG_ ; -- Begin function _ZN9rocsparseL16kernel_calculateILi1024ELi64ELb1E21rocsparse_complex_numIfEiiEEvT4_T3_PKS4_S6_PKS3_PKT2_21rocsparse_index_base_S6_S6_S8_S6_S6_S8_S6_PS9_PNS_15floating_traitsIS9_E6data_tEPKSG_
	.p2align	8
	.type	_ZN9rocsparseL16kernel_calculateILi1024ELi64ELb1E21rocsparse_complex_numIfEiiEEvT4_T3_PKS4_S6_PKS3_PKT2_21rocsparse_index_base_S6_S6_S8_S6_S6_S8_S6_PS9_PNS_15floating_traitsIS9_E6data_tEPKSG_,@function
_ZN9rocsparseL16kernel_calculateILi1024ELi64ELb1E21rocsparse_complex_numIfEiiEEvT4_T3_PKS4_S6_PKS3_PKT2_21rocsparse_index_base_S6_S6_S8_S6_S6_S8_S6_PS9_PNS_15floating_traitsIS9_E6data_tEPKSG_: ; @_ZN9rocsparseL16kernel_calculateILi1024ELi64ELb1E21rocsparse_complex_numIfEiiEEvT4_T3_PKS4_S6_PKS3_PKT2_21rocsparse_index_base_S6_S6_S8_S6_S6_S8_S6_PS9_PNS_15floating_traitsIS9_E6data_tEPKSG_
; %bb.0:
	s_load_dword s33, s[0:1], 0x0
	v_lshrrev_b32_e32 v1, 6, v0
	v_lshl_or_b32 v23, s2, 10, v1
	v_and_b32_e32 v22, 63, v0
	v_mov_b32_e32 v24, 0
	s_waitcnt lgkmcnt(0)
	v_cmp_gt_i32_e32 vcc, s33, v23
	s_and_saveexec_b64 s[6:7], vcc
	s_cbranch_execz .LBB44_47
; %bb.1:
	s_load_dword s50, s[0:1], 0x28
	s_load_dwordx8 s[8:15], s[0:1], 0x50
	s_load_dwordx8 s[16:23], s[0:1], 0x30
	s_load_dwordx8 s[24:31], s[0:1], 0x8
	v_mov_b32_e32 v24, 0
	s_waitcnt lgkmcnt(0)
	v_subrev_u32_e32 v25, s50, v22
	s_mov_b32 s51, 0
	s_mov_b32 s52, 0xf800000
	v_mov_b32_e32 v26, 0x260
	s_movk_i32 s53, 0x1f8
	s_mov_b32 s54, 0x7f800000
	s_branch .LBB44_5
.LBB44_2:                               ;   in Loop: Header=BB44_5 Depth=1
	s_or_b64 exec, exec, s[38:39]
.LBB44_3:                               ;   in Loop: Header=BB44_5 Depth=1
	s_or_b64 exec, exec, s[36:37]
.LBB44_4:                               ;   in Loop: Header=BB44_5 Depth=1
	s_or_b64 exec, exec, s[34:35]
	s_add_i32 s51, s51, 1
	s_cmp_lg_u32 s51, 64
	s_cbranch_scc0 .LBB44_47
.LBB44_5:                               ; =>This Loop Header: Depth=1
                                        ;     Child Loop BB44_9 Depth 2
                                        ;       Child Loop BB44_12 Depth 3
                                        ;       Child Loop BB44_20 Depth 3
	;; [unrolled: 1-line block ×3, first 2 shown]
	v_lshl_add_u32 v2, s51, 4, v23
	v_cmp_gt_i32_e32 vcc, s33, v2
	s_and_saveexec_b64 s[34:35], vcc
	s_cbranch_execz .LBB44_4
; %bb.6:                                ;   in Loop: Header=BB44_5 Depth=1
	v_ashrrev_i32_e32 v3, 31, v2
	v_lshlrev_b64 v[6:7], 2, v[2:3]
	v_lshl_add_u64 v[4:5], s[26:27], 0, v[6:7]
	global_load_dword v3, v[4:5], off
	v_lshl_add_u64 v[4:5], s[24:25], 0, v[6:7]
	global_load_dword v4, v[4:5], off
	s_waitcnt vmcnt(1)
	v_subrev_u32_e32 v3, s50, v3
	s_waitcnt vmcnt(0)
	v_add_u32_e32 v4, v25, v4
	v_cmp_lt_i32_e32 vcc, v4, v3
	s_and_saveexec_b64 s[36:37], vcc
	s_cbranch_execz .LBB44_3
; %bb.7:                                ;   in Loop: Header=BB44_5 Depth=1
	v_lshl_add_u64 v[8:9], s[18:19], 0, v[6:7]
	v_lshl_add_u64 v[6:7], s[16:17], 0, v[6:7]
	global_load_dword v5, v[8:9], off
	s_mov_b64 s[38:39], 0
	global_load_dword v6, v[6:7], off
	s_waitcnt vmcnt(1)
	v_subrev_u32_e32 v27, s50, v5
	s_waitcnt vmcnt(0)
	v_subrev_u32_e32 v28, s50, v6
	v_cmp_lt_i32_e64 s[2:3], v6, v5
	s_branch .LBB44_9
.LBB44_8:                               ;   in Loop: Header=BB44_9 Depth=2
	s_or_b64 exec, exec, s[4:5]
	v_cmp_nlg_f32_e64 s[4:5], |v8|, s54
	v_cmp_gt_f32_e32 vcc, v24, v8
	v_add_u32_e32 v4, 64, v4
	s_or_b64 vcc, s[4:5], vcc
	v_cmp_ge_i32_e64 s[4:5], v4, v3
	s_or_b64 s[38:39], s[4:5], s[38:39]
	v_cndmask_b32_e32 v24, v8, v24, vcc
	s_andn2_b64 exec, exec, s[38:39]
	s_cbranch_execz .LBB44_2
.LBB44_9:                               ;   Parent Loop BB44_5 Depth=1
                                        ; =>  This Loop Header: Depth=2
                                        ;       Child Loop BB44_12 Depth 3
                                        ;       Child Loop BB44_20 Depth 3
                                        ;       Child Loop BB44_28 Depth 3
	v_ashrrev_i32_e32 v5, 31, v4
	v_lshl_add_u64 v[6:7], v[4:5], 2, s[28:29]
	global_load_dword v29, v[6:7], off
	v_mov_b32_e32 v19, 0
	v_mov_b32_e32 v18, v19
	s_waitcnt vmcnt(0)
	v_subrev_u32_e32 v8, s50, v29
	v_ashrrev_i32_e32 v9, 31, v8
	v_lshlrev_b64 v[6:7], 2, v[8:9]
	v_lshl_add_u64 v[10:11], s[18:19], 0, v[6:7]
	global_load_dword v9, v[10:11], off
	v_lshl_add_u64 v[10:11], s[8:9], 0, v[6:7]
	v_lshl_add_u64 v[6:7], s[22:23], 0, v[6:7]
	global_load_dword v13, v[6:7], off
	v_lshl_add_u64 v[6:7], v[4:5], 3, s[30:31]
	global_load_dwordx2 v[16:17], v[6:7], off
	global_load_dword v12, v[10:11], off
	s_waitcnt vmcnt(3)
	v_subrev_u32_e32 v6, s50, v9
	v_ashrrev_i32_e32 v7, 31, v6
	v_lshl_add_u64 v[6:7], v[6:7], 3, s[14:15]
	global_load_dwordx2 v[10:11], v[6:7], off
	s_waitcnt vmcnt(3)
	v_subrev_u32_e32 v14, s50, v13
	s_waitcnt vmcnt(1)
	v_cmp_lt_i32_e32 vcc, v13, v12
	v_subrev_u32_e32 v9, s50, v12
	s_and_b64 s[4:5], s[2:3], vcc
	v_mov_b32_e32 v12, v28
	s_and_saveexec_b64 s[40:41], s[4:5]
	s_cbranch_execz .LBB44_15
; %bb.10:                               ;   in Loop: Header=BB44_9 Depth=2
	v_mov_b32_e32 v18, 0
	s_mov_b64 s[42:43], 0
	v_mov_b32_e32 v12, v28
	v_mov_b32_e32 v19, v18
	s_branch .LBB44_12
.LBB44_11:                              ;   in Loop: Header=BB44_12 Depth=3
	s_or_b64 exec, exec, s[4:5]
	v_cmp_le_i32_e32 vcc, v6, v7
	s_nop 1
	v_addc_co_u32_e32 v12, vcc, 0, v12, vcc
	v_cmp_ge_i32_e32 vcc, v6, v7
	s_nop 1
	v_addc_co_u32_e32 v14, vcc, 0, v14, vcc
	v_cmp_ge_i32_e32 vcc, v12, v27
	v_cmp_ge_i32_e64 s[4:5], v14, v9
	s_or_b64 s[4:5], vcc, s[4:5]
	s_and_b64 s[4:5], exec, s[4:5]
	s_or_b64 s[42:43], s[4:5], s[42:43]
	s_andn2_b64 exec, exec, s[42:43]
	s_cbranch_execz .LBB44_14
.LBB44_12:                              ;   Parent Loop BB44_5 Depth=1
                                        ;     Parent Loop BB44_9 Depth=2
                                        ; =>    This Inner Loop Header: Depth=3
	v_ashrrev_i32_e32 v13, 31, v12
	v_ashrrev_i32_e32 v15, 31, v14
	v_lshl_add_u64 v[6:7], v[12:13], 2, s[20:21]
	v_lshl_add_u64 v[20:21], v[14:15], 2, s[10:11]
	global_load_dword v6, v[6:7], off
	s_nop 0
	global_load_dword v7, v[20:21], off
	s_waitcnt vmcnt(0)
	v_cmp_eq_u32_e32 vcc, v6, v7
	s_and_saveexec_b64 s[4:5], vcc
	s_cbranch_execz .LBB44_11
; %bb.13:                               ;   in Loop: Header=BB44_12 Depth=3
	v_lshl_add_u64 v[20:21], v[14:15], 2, s[12:13]
	global_load_dword v20, v[20:21], off
	v_lshl_add_u64 v[30:31], v[12:13], 3, s[14:15]
	global_load_dwordx2 v[30:31], v[30:31], off
	s_waitcnt vmcnt(1)
	v_ashrrev_i32_e32 v21, 31, v20
	v_lshl_add_u64 v[20:21], v[20:21], 3, s[14:15]
	global_load_dwordx2 v[20:21], v[20:21], off
	s_waitcnt vmcnt(1)
	v_xor_b32_e32 v32, 0x80000000, v31
	v_mov_b32_e32 v33, v30
	s_waitcnt vmcnt(0)
	v_pk_fma_f32 v[18:19], v[30:31], v[20:21], v[18:19] op_sel_hi:[1,0,1]
	s_nop 0
	v_pk_fma_f32 v[18:19], v[32:33], v[20:21], v[18:19] op_sel:[0,1,0]
	s_branch .LBB44_11
.LBB44_14:                              ;   in Loop: Header=BB44_9 Depth=2
	s_or_b64 exec, exec, s[42:43]
.LBB44_15:                              ;   in Loop: Header=BB44_9 Depth=2
	s_or_b64 exec, exec, s[40:41]
	v_pk_add_f32 v[6:7], v[16:17], v[18:19] neg_lo:[0,1] neg_hi:[0,1]
	v_cmp_gt_i32_e32 vcc, v2, v8
	s_and_saveexec_b64 s[4:5], vcc
	s_cbranch_execz .LBB44_17
; %bb.16:                               ;   in Loop: Header=BB44_9 Depth=2
	s_waitcnt vmcnt(0)
	v_mul_f32_e32 v13, v11, v11
	v_fmac_f32_e32 v13, v10, v10
	v_div_scale_f32 v15, s[40:41], v13, v13, 1.0
	v_rcp_f32_e32 v20, v15
	v_div_scale_f32 v21, vcc, 1.0, v13, 1.0
	v_mov_b32_e32 v32, v11
	v_fma_f32 v30, -v15, v20, 1.0
	v_fmac_f32_e32 v20, v30, v20
	v_mul_f32_e32 v30, v21, v20
	v_fma_f32 v31, -v15, v30, v21
	v_fmac_f32_e32 v30, v31, v20
	v_fma_f32 v15, -v15, v30, v21
	v_div_fmas_f32 v15, v15, v20, v30
	v_xor_b32_e32 v31, 0x80000000, v6
	v_mov_b32_e32 v30, v7
	v_pk_mul_f32 v[30:31], v[32:33], v[30:31] op_sel_hi:[0,1]
	v_div_fixup_f32 v20, v15, v13, 1.0
	v_pk_fma_f32 v[6:7], v[6:7], v[10:11], v[30:31] op_sel_hi:[1,0,1]
	s_nop 0
	v_pk_mul_f32 v[6:7], v[20:21], v[6:7] op_sel_hi:[0,1]
.LBB44_17:                              ;   in Loop: Header=BB44_9 Depth=2
	s_or_b64 exec, exec, s[4:5]
	v_pk_add_f32 v[16:17], v[18:19], v[16:17] neg_lo:[0,1] neg_hi:[0,1]
	v_cmp_lt_i32_e32 vcc, v14, v9
	s_and_saveexec_b64 s[4:5], vcc
	s_cbranch_execz .LBB44_25
; %bb.18:                               ;   in Loop: Header=BB44_9 Depth=2
	v_ashrrev_i32_e32 v15, 31, v14
	v_lshl_add_u64 v[18:19], v[14:15], 2, s[10:11]
	s_mov_b64 s[40:41], 0
                                        ; implicit-def: $sgpr42_sgpr43
                                        ; implicit-def: $sgpr46_sgpr47
                                        ; implicit-def: $sgpr44_sgpr45
	s_branch .LBB44_20
.LBB44_19:                              ;   in Loop: Header=BB44_20 Depth=3
	s_or_b64 exec, exec, s[48:49]
	s_and_b64 s[48:49], exec, s[46:47]
	s_or_b64 s[40:41], s[48:49], s[40:41]
	s_andn2_b64 s[42:43], s[42:43], exec
	s_and_b64 s[48:49], s[44:45], exec
	s_or_b64 s[42:43], s[42:43], s[48:49]
	s_andn2_b64 exec, exec, s[40:41]
	s_cbranch_execz .LBB44_22
.LBB44_20:                              ;   Parent Loop BB44_5 Depth=1
                                        ;     Parent Loop BB44_9 Depth=2
                                        ; =>    This Inner Loop Header: Depth=3
	global_load_dword v13, v[18:19], off
	v_mov_b64_e32 v[20:21], v[14:15]
	s_or_b64 s[44:45], s[44:45], exec
	s_or_b64 s[46:47], s[46:47], exec
                                        ; implicit-def: $vgpr14_vgpr15
	s_waitcnt vmcnt(0)
	v_subrev_u32_e32 v13, s50, v13
	v_cmp_ne_u32_e32 vcc, v13, v2
	s_and_saveexec_b64 s[48:49], vcc
	s_cbranch_execz .LBB44_19
; %bb.21:                               ;   in Loop: Header=BB44_20 Depth=3
	v_lshl_add_u64 v[14:15], v[20:21], 0, 1
	v_cmp_ge_i32_e32 vcc, v14, v9
	s_andn2_b64 s[46:47], s[46:47], exec
	s_and_b64 s[56:57], vcc, exec
	v_lshl_add_u64 v[18:19], v[18:19], 0, 4
	s_andn2_b64 s[44:45], s[44:45], exec
	s_or_b64 s[46:47], s[46:47], s[56:57]
	s_branch .LBB44_19
.LBB44_22:                              ;   in Loop: Header=BB44_9 Depth=2
	s_or_b64 exec, exec, s[40:41]
	s_and_saveexec_b64 s[40:41], s[42:43]
	s_xor_b64 s[40:41], exec, s[40:41]
	s_cbranch_execz .LBB44_24
; %bb.23:                               ;   in Loop: Header=BB44_9 Depth=2
	v_lshl_add_u64 v[14:15], v[20:21], 2, s[12:13]
	global_load_dword v14, v[14:15], off
	s_waitcnt vmcnt(0)
	v_ashrrev_i32_e32 v15, 31, v14
	v_lshl_add_u64 v[14:15], v[14:15], 3, s[14:15]
	global_load_dwordx2 v[14:15], v[14:15], off
	s_waitcnt vmcnt(0)
	v_pk_add_f32 v[16:17], v[16:17], v[14:15]
.LBB44_24:                              ;   in Loop: Header=BB44_9 Depth=2
	s_or_b64 exec, exec, s[40:41]
.LBB44_25:                              ;   in Loop: Header=BB44_9 Depth=2
	s_or_b64 exec, exec, s[4:5]
	v_cmp_lt_i32_e32 vcc, v12, v27
	s_and_saveexec_b64 s[4:5], vcc
	s_cbranch_execz .LBB44_33
; %bb.26:                               ;   in Loop: Header=BB44_9 Depth=2
	v_ashrrev_i32_e32 v13, 31, v12
	v_lshl_add_u64 v[14:15], v[12:13], 2, s[20:21]
	s_mov_b64 s[40:41], 0
                                        ; implicit-def: $sgpr42_sgpr43
                                        ; implicit-def: $sgpr46_sgpr47
                                        ; implicit-def: $sgpr44_sgpr45
	s_branch .LBB44_28
.LBB44_27:                              ;   in Loop: Header=BB44_28 Depth=3
	s_or_b64 exec, exec, s[48:49]
	s_and_b64 s[48:49], exec, s[46:47]
	s_or_b64 s[40:41], s[48:49], s[40:41]
	s_andn2_b64 s[42:43], s[42:43], exec
	s_and_b64 s[48:49], s[44:45], exec
	s_or_b64 s[42:43], s[42:43], s[48:49]
	s_andn2_b64 exec, exec, s[40:41]
	s_cbranch_execz .LBB44_30
.LBB44_28:                              ;   Parent Loop BB44_5 Depth=1
                                        ;     Parent Loop BB44_9 Depth=2
                                        ; =>    This Inner Loop Header: Depth=3
	global_load_dword v9, v[14:15], off
	v_mov_b64_e32 v[18:19], v[12:13]
	s_or_b64 s[44:45], s[44:45], exec
	s_or_b64 s[46:47], s[46:47], exec
                                        ; implicit-def: $vgpr12_vgpr13
	s_waitcnt vmcnt(0)
	v_cmp_ne_u32_e32 vcc, v9, v29
	s_and_saveexec_b64 s[48:49], vcc
	s_cbranch_execz .LBB44_27
; %bb.29:                               ;   in Loop: Header=BB44_28 Depth=3
	v_lshl_add_u64 v[12:13], v[18:19], 0, 1
	v_cmp_ge_i32_e32 vcc, v12, v27
	s_andn2_b64 s[46:47], s[46:47], exec
	s_and_b64 s[56:57], vcc, exec
	v_lshl_add_u64 v[14:15], v[14:15], 0, 4
	s_andn2_b64 s[44:45], s[44:45], exec
	s_or_b64 s[46:47], s[46:47], s[56:57]
	s_branch .LBB44_27
.LBB44_30:                              ;   in Loop: Header=BB44_9 Depth=2
	s_or_b64 exec, exec, s[40:41]
	s_and_saveexec_b64 s[40:41], s[42:43]
	s_xor_b64 s[40:41], exec, s[40:41]
	s_cbranch_execz .LBB44_32
; %bb.31:                               ;   in Loop: Header=BB44_9 Depth=2
	v_lshl_add_u64 v[12:13], v[18:19], 3, s[14:15]
	global_load_dwordx2 v[12:13], v[12:13], off
	s_waitcnt vmcnt(0)
	v_xor_b32_e32 v14, 0x80000000, v13
	v_pk_fma_f32 v[16:17], v[12:13], v[10:11], v[16:17] op_sel_hi:[1,0,1]
	v_mov_b32_e32 v15, v12
	v_mov_b32_e32 v12, v11
	v_pk_fma_f32 v[16:17], v[14:15], v[12:13], v[16:17] op_sel_hi:[1,0,1]
.LBB44_32:                              ;   in Loop: Header=BB44_9 Depth=2
	s_or_b64 exec, exec, s[40:41]
.LBB44_33:                              ;   in Loop: Header=BB44_9 Depth=2
	s_or_b64 exec, exec, s[4:5]
	s_waitcnt vmcnt(0)
	v_add_f32_e32 v9, v10, v16
	v_cmp_eq_u32_e32 vcc, v2, v8
	v_add_f32_e32 v10, v11, v17
	s_nop 0
	v_cndmask_b32_e32 v8, v16, v9, vcc
	v_cndmask_b32_e32 v11, v17, v10, vcc
	v_cmp_gt_f32_e32 vcc, 0, v8
	s_nop 1
	v_cndmask_b32_e64 v9, v8, -v8, vcc
	v_cmp_gt_f32_e32 vcc, 0, v11
                                        ; implicit-def: $vgpr8
	s_nop 1
	v_cndmask_b32_e64 v10, v11, -v11, vcc
	v_cmp_ngt_f32_e32 vcc, v9, v10
	s_and_saveexec_b64 s[4:5], vcc
	s_xor_b64 s[40:41], exec, s[4:5]
	s_cbranch_execz .LBB44_37
; %bb.34:                               ;   in Loop: Header=BB44_9 Depth=2
	v_mov_b32_e32 v8, 0
	v_cmp_neq_f32_e32 vcc, 0, v11
	s_and_saveexec_b64 s[42:43], vcc
	s_cbranch_execz .LBB44_36
; %bb.35:                               ;   in Loop: Header=BB44_9 Depth=2
	v_div_scale_f32 v8, s[4:5], v10, v10, v9
	v_rcp_f32_e32 v11, v8
	v_div_scale_f32 v12, vcc, v9, v10, v9
	v_fma_f32 v13, -v8, v11, 1.0
	v_fmac_f32_e32 v11, v13, v11
	v_mul_f32_e32 v13, v12, v11
	v_fma_f32 v14, -v8, v13, v12
	v_fmac_f32_e32 v13, v14, v11
	v_fma_f32 v8, -v8, v13, v12
	v_div_fmas_f32 v8, v8, v11, v13
	v_div_fixup_f32 v8, v8, v10, v9
	v_fma_f32 v8, v8, v8, 1.0
	v_mul_f32_e32 v9, 0x4f800000, v8
	v_cmp_gt_f32_e32 vcc, s52, v8
	s_nop 1
	v_cndmask_b32_e32 v8, v8, v9, vcc
	v_sqrt_f32_e32 v9, v8
	s_nop 0
	v_add_u32_e32 v11, -1, v9
	v_fma_f32 v12, -v11, v9, v8
	v_cmp_ge_f32_e64 s[4:5], 0, v12
	v_add_u32_e32 v12, 1, v9
	s_nop 0
	v_cndmask_b32_e64 v11, v9, v11, s[4:5]
	v_fma_f32 v9, -v12, v9, v8
	v_cmp_lt_f32_e64 s[4:5], 0, v9
	s_nop 1
	v_cndmask_b32_e64 v9, v11, v12, s[4:5]
	v_mul_f32_e32 v11, 0x37800000, v9
	v_cndmask_b32_e32 v9, v9, v11, vcc
	v_cmp_class_f32_e32 vcc, v8, v26
	s_nop 1
	v_cndmask_b32_e32 v8, v9, v8, vcc
	v_mul_f32_e32 v8, v10, v8
.LBB44_36:                              ;   in Loop: Header=BB44_9 Depth=2
	s_or_b64 exec, exec, s[42:43]
                                        ; implicit-def: $vgpr9
                                        ; implicit-def: $vgpr10
.LBB44_37:                              ;   in Loop: Header=BB44_9 Depth=2
	s_andn2_saveexec_b64 s[40:41], s[40:41]
	s_cbranch_execz .LBB44_39
; %bb.38:                               ;   in Loop: Header=BB44_9 Depth=2
	v_div_scale_f32 v8, s[4:5], v9, v9, v10
	v_rcp_f32_e32 v11, v8
	v_div_scale_f32 v12, vcc, v10, v9, v10
	v_fma_f32 v13, -v8, v11, 1.0
	v_fmac_f32_e32 v11, v13, v11
	v_mul_f32_e32 v13, v12, v11
	v_fma_f32 v14, -v8, v13, v12
	v_fmac_f32_e32 v13, v14, v11
	v_fma_f32 v8, -v8, v13, v12
	v_div_fmas_f32 v8, v8, v11, v13
	v_div_fixup_f32 v8, v8, v9, v10
	v_fma_f32 v8, v8, v8, 1.0
	v_mul_f32_e32 v10, 0x4f800000, v8
	v_cmp_gt_f32_e32 vcc, s52, v8
	s_nop 1
	v_cndmask_b32_e32 v8, v8, v10, vcc
	v_sqrt_f32_e32 v10, v8
	s_nop 0
	v_add_u32_e32 v11, -1, v10
	v_fma_f32 v12, -v11, v10, v8
	v_cmp_ge_f32_e64 s[4:5], 0, v12
	v_add_u32_e32 v12, 1, v10
	s_nop 0
	v_cndmask_b32_e64 v11, v10, v11, s[4:5]
	v_fma_f32 v10, -v12, v10, v8
	v_cmp_lt_f32_e64 s[4:5], 0, v10
	s_nop 1
	v_cndmask_b32_e64 v10, v11, v12, s[4:5]
	v_mul_f32_e32 v11, 0x37800000, v10
	v_cndmask_b32_e32 v10, v10, v11, vcc
	v_cmp_class_f32_e32 vcc, v8, v26
	s_nop 1
	v_cndmask_b32_e32 v8, v10, v8, vcc
	v_mul_f32_e32 v8, v9, v8
.LBB44_39:                              ;   in Loop: Header=BB44_9 Depth=2
	s_or_b64 exec, exec, s[40:41]
	v_cmp_gt_f32_e32 vcc, 0, v6
                                        ; implicit-def: $vgpr11
	s_nop 1
	v_cndmask_b32_e64 v9, v6, -v6, vcc
	v_cmp_gt_f32_e32 vcc, 0, v7
	s_nop 1
	v_cndmask_b32_e64 v10, v7, -v7, vcc
	v_cmp_ngt_f32_e32 vcc, v9, v10
	s_and_saveexec_b64 s[4:5], vcc
	s_xor_b64 s[40:41], exec, s[4:5]
	s_cbranch_execnz .LBB44_42
; %bb.40:                               ;   in Loop: Header=BB44_9 Depth=2
	s_andn2_saveexec_b64 s[40:41], s[40:41]
	s_cbranch_execnz .LBB44_45
.LBB44_41:                              ;   in Loop: Header=BB44_9 Depth=2
	s_or_b64 exec, exec, s[40:41]
	v_cmp_class_f32_e64 s[40:41], v11, s53
	s_and_saveexec_b64 s[4:5], s[40:41]
	s_cbranch_execz .LBB44_8
	s_branch .LBB44_46
.LBB44_42:                              ;   in Loop: Header=BB44_9 Depth=2
	v_mov_b32_e32 v11, 0
	v_cmp_neq_f32_e32 vcc, 0, v7
	s_and_saveexec_b64 s[42:43], vcc
	s_cbranch_execz .LBB44_44
; %bb.43:                               ;   in Loop: Header=BB44_9 Depth=2
	v_div_scale_f32 v11, s[4:5], v10, v10, v9
	v_rcp_f32_e32 v12, v11
	v_div_scale_f32 v13, vcc, v9, v10, v9
	v_fma_f32 v14, -v11, v12, 1.0
	v_fmac_f32_e32 v12, v14, v12
	v_mul_f32_e32 v14, v13, v12
	v_fma_f32 v15, -v11, v14, v13
	v_fmac_f32_e32 v14, v15, v12
	v_fma_f32 v11, -v11, v14, v13
	v_div_fmas_f32 v11, v11, v12, v14
	v_div_fixup_f32 v9, v11, v10, v9
	v_fma_f32 v9, v9, v9, 1.0
	v_mul_f32_e32 v11, 0x4f800000, v9
	v_cmp_gt_f32_e32 vcc, s52, v9
	s_nop 1
	v_cndmask_b32_e32 v9, v9, v11, vcc
	v_sqrt_f32_e32 v11, v9
	s_nop 0
	v_add_u32_e32 v12, -1, v11
	v_fma_f32 v13, -v12, v11, v9
	v_cmp_ge_f32_e64 s[4:5], 0, v13
	v_add_u32_e32 v13, 1, v11
	s_nop 0
	v_cndmask_b32_e64 v12, v11, v12, s[4:5]
	v_fma_f32 v11, -v13, v11, v9
	v_cmp_lt_f32_e64 s[4:5], 0, v11
	s_nop 1
	v_cndmask_b32_e64 v11, v12, v13, s[4:5]
	v_mul_f32_e32 v12, 0x37800000, v11
	v_cndmask_b32_e32 v11, v11, v12, vcc
	v_cmp_class_f32_e32 vcc, v9, v26
	s_nop 1
	v_cndmask_b32_e32 v9, v11, v9, vcc
	v_mul_f32_e32 v11, v10, v9
.LBB44_44:                              ;   in Loop: Header=BB44_9 Depth=2
	s_or_b64 exec, exec, s[42:43]
                                        ; implicit-def: $vgpr9
                                        ; implicit-def: $vgpr10
	s_andn2_saveexec_b64 s[40:41], s[40:41]
	s_cbranch_execz .LBB44_41
.LBB44_45:                              ;   in Loop: Header=BB44_9 Depth=2
	v_div_scale_f32 v11, s[4:5], v9, v9, v10
	v_rcp_f32_e32 v12, v11
	v_div_scale_f32 v13, vcc, v10, v9, v10
	v_fma_f32 v14, -v11, v12, 1.0
	v_fmac_f32_e32 v12, v14, v12
	v_mul_f32_e32 v14, v13, v12
	v_fma_f32 v15, -v11, v14, v13
	v_fmac_f32_e32 v14, v15, v12
	v_fma_f32 v11, -v11, v14, v13
	v_div_fmas_f32 v11, v11, v12, v14
	v_div_fixup_f32 v10, v11, v9, v10
	v_fma_f32 v10, v10, v10, 1.0
	v_mul_f32_e32 v11, 0x4f800000, v10
	v_cmp_gt_f32_e32 vcc, s52, v10
	s_nop 1
	v_cndmask_b32_e32 v10, v10, v11, vcc
	v_sqrt_f32_e32 v11, v10
	s_nop 0
	v_add_u32_e32 v12, -1, v11
	v_fma_f32 v13, -v12, v11, v10
	v_cmp_ge_f32_e64 s[4:5], 0, v13
	v_add_u32_e32 v13, 1, v11
	s_nop 0
	v_cndmask_b32_e64 v12, v11, v12, s[4:5]
	v_fma_f32 v11, -v13, v11, v10
	v_cmp_lt_f32_e64 s[4:5], 0, v11
	s_nop 1
	v_cndmask_b32_e64 v11, v12, v13, s[4:5]
	v_mul_f32_e32 v12, 0x37800000, v11
	v_cndmask_b32_e32 v11, v11, v12, vcc
	v_cmp_class_f32_e32 vcc, v10, v26
	s_nop 1
	v_cndmask_b32_e32 v10, v11, v10, vcc
	v_mul_f32_e32 v11, v9, v10
	s_or_b64 exec, exec, s[40:41]
	v_cmp_class_f32_e64 s[40:41], v11, s53
	s_and_saveexec_b64 s[4:5], s[40:41]
	s_cbranch_execz .LBB44_8
.LBB44_46:                              ;   in Loop: Header=BB44_9 Depth=2
	v_lshl_add_u64 v[10:11], v[4:5], 3, s[14:15]
	global_store_dwordx2 v[10:11], v[6:7], off
	s_branch .LBB44_8
.LBB44_47:
	s_or_b64 exec, exec, s[6:7]
	v_mov_b32_dpp v2, v24 row_shr:1 row_mask:0xf bank_mask:0xf
	v_cmp_lt_f32_e32 vcc, v24, v2
	s_nop 1
	v_cndmask_b32_e32 v2, v24, v2, vcc
	s_nop 1
	v_mov_b32_dpp v3, v2 row_shr:2 row_mask:0xf bank_mask:0xf
	v_cmp_lt_f32_e32 vcc, v2, v3
	s_nop 1
	v_cndmask_b32_e32 v2, v2, v3, vcc
	s_nop 1
	;; [unrolled: 5-line block ×4, first 2 shown]
	v_mov_b32_dpp v3, v2 row_bcast:15 row_mask:0xa bank_mask:0xf
	v_cmp_lt_f32_e32 vcc, v2, v3
	s_nop 1
	v_cndmask_b32_e32 v2, v2, v3, vcc
	v_cmp_eq_u32_e32 vcc, 63, v22
	s_nop 0
	v_mov_b32_dpp v3, v2 row_bcast:31 row_mask:0xc bank_mask:0xf
	s_and_saveexec_b64 s[2:3], vcc
; %bb.48:
	v_cmp_lt_f32_e32 vcc, v2, v3
	v_lshlrev_b32_e32 v1, 2, v1
	s_nop 0
	v_cndmask_b32_e32 v2, v2, v3, vcc
	ds_write_b32 v1, v2
; %bb.49:
	s_or_b64 exec, exec, s[2:3]
	v_cmp_gt_u32_e32 vcc, 8, v0
	v_lshlrev_b32_e32 v1, 2, v0
	s_waitcnt lgkmcnt(0)
	s_barrier
	s_and_saveexec_b64 s[2:3], vcc
	s_cbranch_execz .LBB44_51
; %bb.50:
	ds_read2_b32 v[2:3], v1 offset1:8
	s_waitcnt lgkmcnt(0)
	v_cmp_lt_f32_e32 vcc, v2, v3
	s_nop 1
	v_cndmask_b32_e32 v2, v2, v3, vcc
	ds_write_b32 v1, v2
.LBB44_51:
	s_or_b64 exec, exec, s[2:3]
	v_cmp_gt_u32_e32 vcc, 4, v0
	s_waitcnt lgkmcnt(0)
	s_barrier
	s_and_saveexec_b64 s[2:3], vcc
	s_cbranch_execz .LBB44_53
; %bb.52:
	ds_read2_b32 v[2:3], v1 offset1:4
	s_waitcnt lgkmcnt(0)
	v_cmp_lt_f32_e32 vcc, v2, v3
	s_nop 1
	v_cndmask_b32_e32 v2, v2, v3, vcc
	ds_write_b32 v1, v2
.LBB44_53:
	s_or_b64 exec, exec, s[2:3]
	v_cmp_gt_u32_e32 vcc, 2, v0
	s_waitcnt lgkmcnt(0)
	s_barrier
	s_and_saveexec_b64 s[2:3], vcc
	s_cbranch_execz .LBB44_55
; %bb.54:
	ds_read2_b32 v[2:3], v1 offset1:2
	s_waitcnt lgkmcnt(0)
	v_cmp_lt_f32_e32 vcc, v2, v3
	s_nop 1
	v_cndmask_b32_e32 v2, v2, v3, vcc
	ds_write_b32 v1, v2
.LBB44_55:
	s_or_b64 exec, exec, s[2:3]
	v_cmp_eq_u32_e32 vcc, 0, v0
	s_waitcnt lgkmcnt(0)
	s_barrier
	s_and_saveexec_b64 s[4:5], vcc
	s_cbranch_execz .LBB44_57
; %bb.56:
	v_mov_b32_e32 v2, 0
	ds_read_b64 v[0:1], v2
	s_waitcnt lgkmcnt(0)
	v_cmp_lt_f32_e64 s[2:3], v0, v1
	s_nop 1
	v_cndmask_b32_e64 v0, v0, v1, s[2:3]
	ds_write_b32 v2, v0
.LBB44_57:
	s_or_b64 exec, exec, s[4:5]
	s_waitcnt lgkmcnt(0)
	s_barrier
	s_and_saveexec_b64 s[2:3], vcc
	s_cbranch_execz .LBB44_61
; %bb.58:
	v_mbcnt_lo_u32_b32 v0, exec_lo, 0
	v_mbcnt_hi_u32_b32 v0, exec_hi, v0
	v_cmp_eq_u32_e32 vcc, 0, v0
	s_and_b64 exec, exec, vcc
	s_cbranch_execz .LBB44_61
; %bb.59:
	s_load_dwordx4 s[0:3], s[0:1], 0x70
	v_mov_b32_e32 v2, 0
	ds_read_b32 v0, v2
	s_waitcnt lgkmcnt(0)
	s_load_dword s6, s[2:3], 0x0
	s_mov_b64 s[2:3], 0
	s_waitcnt lgkmcnt(0)
	v_div_scale_f32 v1, s[4:5], s6, s6, v0
	v_rcp_f32_e32 v3, v1
	v_div_scale_f32 v4, vcc, v0, s6, v0
	s_load_dword s4, s[0:1], 0x0
	v_fma_f32 v5, -v1, v3, 1.0
	v_fmac_f32_e32 v3, v5, v3
	v_mul_f32_e32 v5, v4, v3
	v_fma_f32 v6, -v1, v5, v4
	v_fmac_f32_e32 v5, v6, v3
	v_fma_f32 v1, -v1, v5, v4
	v_div_fmas_f32 v1, v1, v3, v5
	v_div_fixup_f32 v0, v1, s6, v0
	s_waitcnt lgkmcnt(0)
	v_mov_b32_e32 v1, s4
	v_max_f32_e32 v3, v0, v0
.LBB44_60:                              ; =>This Inner Loop Header: Depth=1
	v_max_f32_e32 v0, v1, v1
	v_max_f32_e32 v0, v0, v3
	global_atomic_cmpswap v0, v2, v[0:1], s[0:1] sc0
	s_waitcnt vmcnt(0)
	v_cmp_eq_u32_e32 vcc, v0, v1
	s_or_b64 s[2:3], vcc, s[2:3]
	v_mov_b32_e32 v1, v0
	s_andn2_b64 exec, exec, s[2:3]
	s_cbranch_execnz .LBB44_60
.LBB44_61:
	s_endpgm
	.section	.rodata,"a",@progbits
	.p2align	6, 0x0
	.amdhsa_kernel _ZN9rocsparseL16kernel_calculateILi1024ELi64ELb1E21rocsparse_complex_numIfEiiEEvT4_T3_PKS4_S6_PKS3_PKT2_21rocsparse_index_base_S6_S6_S8_S6_S6_S8_S6_PS9_PNS_15floating_traitsIS9_E6data_tEPKSG_
		.amdhsa_group_segment_fixed_size 64
		.amdhsa_private_segment_fixed_size 0
		.amdhsa_kernarg_size 128
		.amdhsa_user_sgpr_count 2
		.amdhsa_user_sgpr_dispatch_ptr 0
		.amdhsa_user_sgpr_queue_ptr 0
		.amdhsa_user_sgpr_kernarg_segment_ptr 1
		.amdhsa_user_sgpr_dispatch_id 0
		.amdhsa_user_sgpr_kernarg_preload_length 0
		.amdhsa_user_sgpr_kernarg_preload_offset 0
		.amdhsa_user_sgpr_private_segment_size 0
		.amdhsa_uses_dynamic_stack 0
		.amdhsa_enable_private_segment 0
		.amdhsa_system_sgpr_workgroup_id_x 1
		.amdhsa_system_sgpr_workgroup_id_y 0
		.amdhsa_system_sgpr_workgroup_id_z 0
		.amdhsa_system_sgpr_workgroup_info 0
		.amdhsa_system_vgpr_workitem_id 0
		.amdhsa_next_free_vgpr 34
		.amdhsa_next_free_sgpr 58
		.amdhsa_accum_offset 36
		.amdhsa_reserve_vcc 1
		.amdhsa_float_round_mode_32 0
		.amdhsa_float_round_mode_16_64 0
		.amdhsa_float_denorm_mode_32 3
		.amdhsa_float_denorm_mode_16_64 3
		.amdhsa_dx10_clamp 1
		.amdhsa_ieee_mode 1
		.amdhsa_fp16_overflow 0
		.amdhsa_tg_split 0
		.amdhsa_exception_fp_ieee_invalid_op 0
		.amdhsa_exception_fp_denorm_src 0
		.amdhsa_exception_fp_ieee_div_zero 0
		.amdhsa_exception_fp_ieee_overflow 0
		.amdhsa_exception_fp_ieee_underflow 0
		.amdhsa_exception_fp_ieee_inexact 0
		.amdhsa_exception_int_div_zero 0
	.end_amdhsa_kernel
	.section	.text._ZN9rocsparseL16kernel_calculateILi1024ELi64ELb1E21rocsparse_complex_numIfEiiEEvT4_T3_PKS4_S6_PKS3_PKT2_21rocsparse_index_base_S6_S6_S8_S6_S6_S8_S6_PS9_PNS_15floating_traitsIS9_E6data_tEPKSG_,"axG",@progbits,_ZN9rocsparseL16kernel_calculateILi1024ELi64ELb1E21rocsparse_complex_numIfEiiEEvT4_T3_PKS4_S6_PKS3_PKT2_21rocsparse_index_base_S6_S6_S8_S6_S6_S8_S6_PS9_PNS_15floating_traitsIS9_E6data_tEPKSG_,comdat
.Lfunc_end44:
	.size	_ZN9rocsparseL16kernel_calculateILi1024ELi64ELb1E21rocsparse_complex_numIfEiiEEvT4_T3_PKS4_S6_PKS3_PKT2_21rocsparse_index_base_S6_S6_S8_S6_S6_S8_S6_PS9_PNS_15floating_traitsIS9_E6data_tEPKSG_, .Lfunc_end44-_ZN9rocsparseL16kernel_calculateILi1024ELi64ELb1E21rocsparse_complex_numIfEiiEEvT4_T3_PKS4_S6_PKS3_PKT2_21rocsparse_index_base_S6_S6_S8_S6_S6_S8_S6_PS9_PNS_15floating_traitsIS9_E6data_tEPKSG_
                                        ; -- End function
	.set _ZN9rocsparseL16kernel_calculateILi1024ELi64ELb1E21rocsparse_complex_numIfEiiEEvT4_T3_PKS4_S6_PKS3_PKT2_21rocsparse_index_base_S6_S6_S8_S6_S6_S8_S6_PS9_PNS_15floating_traitsIS9_E6data_tEPKSG_.num_vgpr, 34
	.set _ZN9rocsparseL16kernel_calculateILi1024ELi64ELb1E21rocsparse_complex_numIfEiiEEvT4_T3_PKS4_S6_PKS3_PKT2_21rocsparse_index_base_S6_S6_S8_S6_S6_S8_S6_PS9_PNS_15floating_traitsIS9_E6data_tEPKSG_.num_agpr, 0
	.set _ZN9rocsparseL16kernel_calculateILi1024ELi64ELb1E21rocsparse_complex_numIfEiiEEvT4_T3_PKS4_S6_PKS3_PKT2_21rocsparse_index_base_S6_S6_S8_S6_S6_S8_S6_PS9_PNS_15floating_traitsIS9_E6data_tEPKSG_.numbered_sgpr, 58
	.set _ZN9rocsparseL16kernel_calculateILi1024ELi64ELb1E21rocsparse_complex_numIfEiiEEvT4_T3_PKS4_S6_PKS3_PKT2_21rocsparse_index_base_S6_S6_S8_S6_S6_S8_S6_PS9_PNS_15floating_traitsIS9_E6data_tEPKSG_.num_named_barrier, 0
	.set _ZN9rocsparseL16kernel_calculateILi1024ELi64ELb1E21rocsparse_complex_numIfEiiEEvT4_T3_PKS4_S6_PKS3_PKT2_21rocsparse_index_base_S6_S6_S8_S6_S6_S8_S6_PS9_PNS_15floating_traitsIS9_E6data_tEPKSG_.private_seg_size, 0
	.set _ZN9rocsparseL16kernel_calculateILi1024ELi64ELb1E21rocsparse_complex_numIfEiiEEvT4_T3_PKS4_S6_PKS3_PKT2_21rocsparse_index_base_S6_S6_S8_S6_S6_S8_S6_PS9_PNS_15floating_traitsIS9_E6data_tEPKSG_.uses_vcc, 1
	.set _ZN9rocsparseL16kernel_calculateILi1024ELi64ELb1E21rocsparse_complex_numIfEiiEEvT4_T3_PKS4_S6_PKS3_PKT2_21rocsparse_index_base_S6_S6_S8_S6_S6_S8_S6_PS9_PNS_15floating_traitsIS9_E6data_tEPKSG_.uses_flat_scratch, 0
	.set _ZN9rocsparseL16kernel_calculateILi1024ELi64ELb1E21rocsparse_complex_numIfEiiEEvT4_T3_PKS4_S6_PKS3_PKT2_21rocsparse_index_base_S6_S6_S8_S6_S6_S8_S6_PS9_PNS_15floating_traitsIS9_E6data_tEPKSG_.has_dyn_sized_stack, 0
	.set _ZN9rocsparseL16kernel_calculateILi1024ELi64ELb1E21rocsparse_complex_numIfEiiEEvT4_T3_PKS4_S6_PKS3_PKT2_21rocsparse_index_base_S6_S6_S8_S6_S6_S8_S6_PS9_PNS_15floating_traitsIS9_E6data_tEPKSG_.has_recursion, 0
	.set _ZN9rocsparseL16kernel_calculateILi1024ELi64ELb1E21rocsparse_complex_numIfEiiEEvT4_T3_PKS4_S6_PKS3_PKT2_21rocsparse_index_base_S6_S6_S8_S6_S6_S8_S6_PS9_PNS_15floating_traitsIS9_E6data_tEPKSG_.has_indirect_call, 0
	.section	.AMDGPU.csdata,"",@progbits
; Kernel info:
; codeLenInByte = 3056
; TotalNumSgprs: 64
; NumVgprs: 34
; NumAgprs: 0
; TotalNumVgprs: 34
; ScratchSize: 0
; MemoryBound: 0
; FloatMode: 240
; IeeeMode: 1
; LDSByteSize: 64 bytes/workgroup (compile time only)
; SGPRBlocks: 7
; VGPRBlocks: 4
; NumSGPRsForWavesPerEU: 64
; NumVGPRsForWavesPerEU: 34
; AccumOffset: 36
; Occupancy: 8
; WaveLimiterHint : 1
; COMPUTE_PGM_RSRC2:SCRATCH_EN: 0
; COMPUTE_PGM_RSRC2:USER_SGPR: 2
; COMPUTE_PGM_RSRC2:TRAP_HANDLER: 0
; COMPUTE_PGM_RSRC2:TGID_X_EN: 1
; COMPUTE_PGM_RSRC2:TGID_Y_EN: 0
; COMPUTE_PGM_RSRC2:TGID_Z_EN: 0
; COMPUTE_PGM_RSRC2:TIDIG_COMP_CNT: 0
; COMPUTE_PGM_RSRC3_GFX90A:ACCUM_OFFSET: 8
; COMPUTE_PGM_RSRC3_GFX90A:TG_SPLIT: 0
	.section	.text._ZN9rocsparseL16kernel_calculateILi1024ELi1ELb0E21rocsparse_complex_numIfEiiEEvT4_T3_PKS4_S6_PKS3_PKT2_21rocsparse_index_base_S6_S6_S8_S6_S6_S8_S6_PS9_PNS_15floating_traitsIS9_E6data_tEPKSG_,"axG",@progbits,_ZN9rocsparseL16kernel_calculateILi1024ELi1ELb0E21rocsparse_complex_numIfEiiEEvT4_T3_PKS4_S6_PKS3_PKT2_21rocsparse_index_base_S6_S6_S8_S6_S6_S8_S6_PS9_PNS_15floating_traitsIS9_E6data_tEPKSG_,comdat
	.globl	_ZN9rocsparseL16kernel_calculateILi1024ELi1ELb0E21rocsparse_complex_numIfEiiEEvT4_T3_PKS4_S6_PKS3_PKT2_21rocsparse_index_base_S6_S6_S8_S6_S6_S8_S6_PS9_PNS_15floating_traitsIS9_E6data_tEPKSG_ ; -- Begin function _ZN9rocsparseL16kernel_calculateILi1024ELi1ELb0E21rocsparse_complex_numIfEiiEEvT4_T3_PKS4_S6_PKS3_PKT2_21rocsparse_index_base_S6_S6_S8_S6_S6_S8_S6_PS9_PNS_15floating_traitsIS9_E6data_tEPKSG_
	.p2align	8
	.type	_ZN9rocsparseL16kernel_calculateILi1024ELi1ELb0E21rocsparse_complex_numIfEiiEEvT4_T3_PKS4_S6_PKS3_PKT2_21rocsparse_index_base_S6_S6_S8_S6_S6_S8_S6_PS9_PNS_15floating_traitsIS9_E6data_tEPKSG_,@function
_ZN9rocsparseL16kernel_calculateILi1024ELi1ELb0E21rocsparse_complex_numIfEiiEEvT4_T3_PKS4_S6_PKS3_PKT2_21rocsparse_index_base_S6_S6_S8_S6_S6_S8_S6_PS9_PNS_15floating_traitsIS9_E6data_tEPKSG_: ; @_ZN9rocsparseL16kernel_calculateILi1024ELi1ELb0E21rocsparse_complex_numIfEiiEEvT4_T3_PKS4_S6_PKS3_PKT2_21rocsparse_index_base_S6_S6_S8_S6_S6_S8_S6_PS9_PNS_15floating_traitsIS9_E6data_tEPKSG_
; %bb.0:
	s_load_dword s3, s[0:1], 0x0
	v_lshl_or_b32 v0, s2, 10, v0
	s_waitcnt lgkmcnt(0)
	v_cmp_gt_i32_e32 vcc, s3, v0
	s_and_saveexec_b64 s[2:3], vcc
	s_cbranch_execz .LBB45_20
; %bb.1:
	s_load_dwordx4 s[4:7], s[0:1], 0x8
	v_ashrrev_i32_e32 v1, 31, v0
	v_lshlrev_b64 v[2:3], 2, v[0:1]
	s_waitcnt lgkmcnt(0)
	v_lshl_add_u64 v[6:7], s[6:7], 0, v[2:3]
	v_lshl_add_u64 v[8:9], s[4:5], 0, v[2:3]
	global_load_dword v4, v[6:7], off
	global_load_dword v5, v[8:9], off
	s_waitcnt vmcnt(0)
	v_cmp_lt_i32_e32 vcc, v5, v4
	s_and_b64 exec, exec, vcc
	s_cbranch_execz .LBB45_20
; %bb.2:
	s_load_dwordx8 s[4:11], s[0:1], 0x30
	s_mov_b32 s29, 0xf800000
	v_mov_b32_e32 v1, 0x260
	s_movk_i32 s30, 0x1f8
	s_waitcnt lgkmcnt(0)
	v_lshl_add_u64 v[6:7], s[4:5], 0, v[2:3]
	v_lshl_add_u64 v[2:3], s[6:7], 0, v[2:3]
	global_load_dword v8, v[2:3], off
	global_load_dword v9, v[6:7], off
	s_load_dwordx4 s[20:23], s[0:1], 0x18
	s_load_dword s28, s[0:1], 0x28
	s_load_dwordx8 s[12:19], s[0:1], 0x50
	s_mov_b64 s[4:5], 0
	s_waitcnt lgkmcnt(0)
	v_subrev_u32_e32 v16, s28, v4
	v_subrev_u32_e32 v2, s28, v5
	s_waitcnt vmcnt(1)
	v_subrev_u32_e32 v17, s28, v8
	s_waitcnt vmcnt(0)
	v_cmp_lt_i32_e64 s[0:1], v9, v8
	v_subrev_u32_e32 v18, s28, v9
	s_branch .LBB45_4
.LBB45_3:                               ;   in Loop: Header=BB45_4 Depth=1
	s_or_b64 exec, exec, s[2:3]
	v_add_u32_e32 v2, 1, v2
	v_cmp_ge_i32_e32 vcc, v2, v16
	s_or_b64 s[4:5], vcc, s[4:5]
	s_andn2_b64 exec, exec, s[4:5]
	s_cbranch_execz .LBB45_20
.LBB45_4:                               ; =>This Loop Header: Depth=1
                                        ;     Child Loop BB45_7 Depth 2
	v_ashrrev_i32_e32 v3, 31, v2
	v_lshl_add_u64 v[4:5], v[2:3], 2, s[20:21]
	global_load_dword v4, v[4:5], off
	s_waitcnt vmcnt(0)
	v_subrev_u32_e32 v8, s28, v4
	v_ashrrev_i32_e32 v9, 31, v8
	v_lshlrev_b64 v[6:7], 2, v[8:9]
	v_lshl_add_u64 v[4:5], s[6:7], 0, v[6:7]
	global_load_dword v13, v[4:5], off
	v_lshl_add_u64 v[10:11], s[12:13], 0, v[6:7]
	v_lshl_add_u64 v[6:7], s[10:11], 0, v[6:7]
	global_load_dword v12, v[6:7], off
	global_load_dword v9, v[10:11], off
	v_lshl_add_u64 v[4:5], v[2:3], 3, s[22:23]
	global_load_dwordx2 v[4:5], v[4:5], off
	v_mov_b32_e32 v11, 0
	v_mov_b32_e32 v10, v11
	s_waitcnt vmcnt(3)
	v_subrev_u32_e32 v6, s28, v13
	v_ashrrev_i32_e32 v7, 31, v6
	v_lshl_add_u64 v[6:7], v[6:7], 3, s[18:19]
	global_load_dwordx2 v[6:7], v[6:7], off
	s_waitcnt vmcnt(2)
	v_cmp_lt_i32_e32 vcc, v12, v9
	s_and_b64 s[2:3], s[0:1], vcc
	s_and_saveexec_b64 s[24:25], s[2:3]
	s_cbranch_execz .LBB45_10
; %bb.5:                                ;   in Loop: Header=BB45_4 Depth=1
	v_mov_b32_e32 v10, 0
	v_subrev_u32_e32 v9, s28, v9
	v_subrev_u32_e32 v12, s28, v12
	s_mov_b64 s[26:27], 0
	v_mov_b32_e32 v14, v18
	v_mov_b32_e32 v11, v10
	s_branch .LBB45_7
.LBB45_6:                               ;   in Loop: Header=BB45_7 Depth=2
	s_or_b64 exec, exec, s[2:3]
	v_cmp_le_i32_e32 vcc, v19, v20
	s_nop 1
	v_addc_co_u32_e32 v14, vcc, 0, v14, vcc
	v_cmp_ge_i32_e32 vcc, v19, v20
	s_nop 1
	v_addc_co_u32_e32 v12, vcc, 0, v12, vcc
	v_cmp_ge_i32_e32 vcc, v14, v17
	v_cmp_ge_i32_e64 s[2:3], v12, v9
	s_or_b64 s[2:3], vcc, s[2:3]
	s_and_b64 s[2:3], exec, s[2:3]
	s_or_b64 s[26:27], s[2:3], s[26:27]
	s_andn2_b64 exec, exec, s[26:27]
	s_cbranch_execz .LBB45_9
.LBB45_7:                               ;   Parent Loop BB45_4 Depth=1
                                        ; =>  This Inner Loop Header: Depth=2
	v_ashrrev_i32_e32 v15, 31, v14
	v_lshl_add_u64 v[20:21], v[14:15], 2, s[8:9]
	v_ashrrev_i32_e32 v13, 31, v12
	global_load_dword v19, v[20:21], off
	v_lshl_add_u64 v[20:21], v[12:13], 2, s[14:15]
	global_load_dword v20, v[20:21], off
	s_waitcnt vmcnt(0)
	v_cmp_eq_u32_e32 vcc, v19, v20
	s_and_saveexec_b64 s[2:3], vcc
	s_cbranch_execz .LBB45_6
; %bb.8:                                ;   in Loop: Header=BB45_7 Depth=2
	v_lshl_add_u64 v[22:23], v[12:13], 2, s[16:17]
	global_load_dword v22, v[22:23], off
	v_lshl_add_u64 v[24:25], v[14:15], 3, s[18:19]
	global_load_dwordx2 v[24:25], v[24:25], off
	s_waitcnt vmcnt(1)
	v_ashrrev_i32_e32 v23, 31, v22
	v_lshl_add_u64 v[22:23], v[22:23], 3, s[18:19]
	global_load_dwordx2 v[22:23], v[22:23], off
	s_waitcnt vmcnt(1)
	v_xor_b32_e32 v26, 0x80000000, v25
	v_mov_b32_e32 v27, v24
	s_waitcnt vmcnt(0)
	v_pk_fma_f32 v[10:11], v[24:25], v[22:23], v[10:11] op_sel_hi:[1,0,1]
	s_nop 0
	v_pk_fma_f32 v[10:11], v[26:27], v[22:23], v[10:11] op_sel:[0,1,0]
	s_branch .LBB45_6
.LBB45_9:                               ;   in Loop: Header=BB45_4 Depth=1
	s_or_b64 exec, exec, s[26:27]
.LBB45_10:                              ;   in Loop: Header=BB45_4 Depth=1
	s_or_b64 exec, exec, s[24:25]
	s_waitcnt vmcnt(1)
	v_pk_add_f32 v[4:5], v[4:5], v[10:11] neg_lo:[0,1] neg_hi:[0,1]
	v_cmp_gt_i32_e32 vcc, v0, v8
	s_and_saveexec_b64 s[2:3], vcc
	s_cbranch_execz .LBB45_12
; %bb.11:                               ;   in Loop: Header=BB45_4 Depth=1
	s_waitcnt vmcnt(0)
	v_mul_f32_e32 v8, v7, v7
	v_fmac_f32_e32 v8, v6, v6
	v_div_scale_f32 v9, s[24:25], v8, v8, 1.0
	v_rcp_f32_e32 v10, v9
	v_div_scale_f32 v11, vcc, 1.0, v8, 1.0
	v_fma_f32 v12, -v9, v10, 1.0
	v_fmac_f32_e32 v10, v12, v10
	v_mul_f32_e32 v12, v11, v10
	v_fma_f32 v13, -v9, v12, v11
	v_fmac_f32_e32 v12, v13, v10
	v_fma_f32 v9, -v9, v12, v11
	v_div_fmas_f32 v9, v9, v10, v12
	v_xor_b32_e32 v11, 0x80000000, v4
	v_mov_b32_e32 v10, v5
	v_pk_mul_f32 v[10:11], v[6:7], v[10:11] op_sel:[1,0]
	v_div_fixup_f32 v8, v9, v8, 1.0
	v_pk_fma_f32 v[4:5], v[4:5], v[6:7], v[10:11] op_sel_hi:[1,0,1]
	s_nop 0
	v_pk_mul_f32 v[4:5], v[8:9], v[4:5] op_sel_hi:[0,1]
.LBB45_12:                              ;   in Loop: Header=BB45_4 Depth=1
	s_or_b64 exec, exec, s[2:3]
	v_cmp_gt_f32_e32 vcc, 0, v4
                                        ; implicit-def: $vgpr8
	s_waitcnt vmcnt(0)
	s_nop 0
	v_cndmask_b32_e64 v6, v4, -v4, vcc
	v_cmp_gt_f32_e32 vcc, 0, v5
	s_nop 1
	v_cndmask_b32_e64 v7, v5, -v5, vcc
	v_cmp_ngt_f32_e32 vcc, v6, v7
	s_and_saveexec_b64 s[2:3], vcc
	s_xor_b64 s[24:25], exec, s[2:3]
	s_cbranch_execnz .LBB45_15
; %bb.13:                               ;   in Loop: Header=BB45_4 Depth=1
	s_andn2_saveexec_b64 s[24:25], s[24:25]
	s_cbranch_execnz .LBB45_18
.LBB45_14:                              ;   in Loop: Header=BB45_4 Depth=1
	s_or_b64 exec, exec, s[24:25]
	v_cmp_class_f32_e64 s[24:25], v8, s30
	s_and_saveexec_b64 s[2:3], s[24:25]
	s_cbranch_execz .LBB45_3
	s_branch .LBB45_19
.LBB45_15:                              ;   in Loop: Header=BB45_4 Depth=1
	v_mov_b32_e32 v8, 0
	v_cmp_neq_f32_e32 vcc, 0, v5
	s_and_saveexec_b64 s[26:27], vcc
	s_cbranch_execz .LBB45_17
; %bb.16:                               ;   in Loop: Header=BB45_4 Depth=1
	v_div_scale_f32 v8, s[2:3], v7, v7, v6
	v_rcp_f32_e32 v9, v8
	v_div_scale_f32 v10, vcc, v6, v7, v6
	v_fma_f32 v11, -v8, v9, 1.0
	v_fmac_f32_e32 v9, v11, v9
	v_mul_f32_e32 v11, v10, v9
	v_fma_f32 v12, -v8, v11, v10
	v_fmac_f32_e32 v11, v12, v9
	v_fma_f32 v8, -v8, v11, v10
	v_div_fmas_f32 v8, v8, v9, v11
	v_div_fixup_f32 v6, v8, v7, v6
	v_fma_f32 v6, v6, v6, 1.0
	v_mul_f32_e32 v8, 0x4f800000, v6
	v_cmp_gt_f32_e32 vcc, s29, v6
	s_nop 1
	v_cndmask_b32_e32 v6, v6, v8, vcc
	v_sqrt_f32_e32 v8, v6
	s_nop 0
	v_add_u32_e32 v9, -1, v8
	v_fma_f32 v10, -v9, v8, v6
	v_cmp_ge_f32_e64 s[2:3], 0, v10
	v_add_u32_e32 v10, 1, v8
	s_nop 0
	v_cndmask_b32_e64 v9, v8, v9, s[2:3]
	v_fma_f32 v8, -v10, v8, v6
	v_cmp_lt_f32_e64 s[2:3], 0, v8
	s_nop 1
	v_cndmask_b32_e64 v8, v9, v10, s[2:3]
	v_mul_f32_e32 v9, 0x37800000, v8
	v_cndmask_b32_e32 v8, v8, v9, vcc
	v_cmp_class_f32_e32 vcc, v6, v1
	s_nop 1
	v_cndmask_b32_e32 v6, v8, v6, vcc
	v_mul_f32_e32 v8, v7, v6
.LBB45_17:                              ;   in Loop: Header=BB45_4 Depth=1
	s_or_b64 exec, exec, s[26:27]
                                        ; implicit-def: $vgpr6
                                        ; implicit-def: $vgpr7
	s_andn2_saveexec_b64 s[24:25], s[24:25]
	s_cbranch_execz .LBB45_14
.LBB45_18:                              ;   in Loop: Header=BB45_4 Depth=1
	v_div_scale_f32 v8, s[2:3], v6, v6, v7
	v_rcp_f32_e32 v9, v8
	v_div_scale_f32 v10, vcc, v7, v6, v7
	v_fma_f32 v11, -v8, v9, 1.0
	v_fmac_f32_e32 v9, v11, v9
	v_mul_f32_e32 v11, v10, v9
	v_fma_f32 v12, -v8, v11, v10
	v_fmac_f32_e32 v11, v12, v9
	v_fma_f32 v8, -v8, v11, v10
	v_div_fmas_f32 v8, v8, v9, v11
	v_div_fixup_f32 v7, v8, v6, v7
	v_fma_f32 v7, v7, v7, 1.0
	v_mul_f32_e32 v8, 0x4f800000, v7
	v_cmp_gt_f32_e32 vcc, s29, v7
	s_nop 1
	v_cndmask_b32_e32 v7, v7, v8, vcc
	v_sqrt_f32_e32 v8, v7
	s_nop 0
	v_add_u32_e32 v9, -1, v8
	v_fma_f32 v10, -v9, v8, v7
	v_cmp_ge_f32_e64 s[2:3], 0, v10
	v_add_u32_e32 v10, 1, v8
	s_nop 0
	v_cndmask_b32_e64 v9, v8, v9, s[2:3]
	v_fma_f32 v8, -v10, v8, v7
	v_cmp_lt_f32_e64 s[2:3], 0, v8
	s_nop 1
	v_cndmask_b32_e64 v8, v9, v10, s[2:3]
	v_mul_f32_e32 v9, 0x37800000, v8
	v_cndmask_b32_e32 v8, v8, v9, vcc
	v_cmp_class_f32_e32 vcc, v7, v1
	s_nop 1
	v_cndmask_b32_e32 v7, v8, v7, vcc
	v_mul_f32_e32 v8, v6, v7
	s_or_b64 exec, exec, s[24:25]
	v_cmp_class_f32_e64 s[24:25], v8, s30
	s_and_saveexec_b64 s[2:3], s[24:25]
	s_cbranch_execz .LBB45_3
.LBB45_19:                              ;   in Loop: Header=BB45_4 Depth=1
	v_lshl_add_u64 v[6:7], v[2:3], 3, s[18:19]
	global_store_dwordx2 v[6:7], v[4:5], off
	s_branch .LBB45_3
.LBB45_20:
	s_endpgm
	.section	.rodata,"a",@progbits
	.p2align	6, 0x0
	.amdhsa_kernel _ZN9rocsparseL16kernel_calculateILi1024ELi1ELb0E21rocsparse_complex_numIfEiiEEvT4_T3_PKS4_S6_PKS3_PKT2_21rocsparse_index_base_S6_S6_S8_S6_S6_S8_S6_PS9_PNS_15floating_traitsIS9_E6data_tEPKSG_
		.amdhsa_group_segment_fixed_size 0
		.amdhsa_private_segment_fixed_size 0
		.amdhsa_kernarg_size 128
		.amdhsa_user_sgpr_count 2
		.amdhsa_user_sgpr_dispatch_ptr 0
		.amdhsa_user_sgpr_queue_ptr 0
		.amdhsa_user_sgpr_kernarg_segment_ptr 1
		.amdhsa_user_sgpr_dispatch_id 0
		.amdhsa_user_sgpr_kernarg_preload_length 0
		.amdhsa_user_sgpr_kernarg_preload_offset 0
		.amdhsa_user_sgpr_private_segment_size 0
		.amdhsa_uses_dynamic_stack 0
		.amdhsa_enable_private_segment 0
		.amdhsa_system_sgpr_workgroup_id_x 1
		.amdhsa_system_sgpr_workgroup_id_y 0
		.amdhsa_system_sgpr_workgroup_id_z 0
		.amdhsa_system_sgpr_workgroup_info 0
		.amdhsa_system_vgpr_workitem_id 0
		.amdhsa_next_free_vgpr 28
		.amdhsa_next_free_sgpr 31
		.amdhsa_accum_offset 28
		.amdhsa_reserve_vcc 1
		.amdhsa_float_round_mode_32 0
		.amdhsa_float_round_mode_16_64 0
		.amdhsa_float_denorm_mode_32 3
		.amdhsa_float_denorm_mode_16_64 3
		.amdhsa_dx10_clamp 1
		.amdhsa_ieee_mode 1
		.amdhsa_fp16_overflow 0
		.amdhsa_tg_split 0
		.amdhsa_exception_fp_ieee_invalid_op 0
		.amdhsa_exception_fp_denorm_src 0
		.amdhsa_exception_fp_ieee_div_zero 0
		.amdhsa_exception_fp_ieee_overflow 0
		.amdhsa_exception_fp_ieee_underflow 0
		.amdhsa_exception_fp_ieee_inexact 0
		.amdhsa_exception_int_div_zero 0
	.end_amdhsa_kernel
	.section	.text._ZN9rocsparseL16kernel_calculateILi1024ELi1ELb0E21rocsparse_complex_numIfEiiEEvT4_T3_PKS4_S6_PKS3_PKT2_21rocsparse_index_base_S6_S6_S8_S6_S6_S8_S6_PS9_PNS_15floating_traitsIS9_E6data_tEPKSG_,"axG",@progbits,_ZN9rocsparseL16kernel_calculateILi1024ELi1ELb0E21rocsparse_complex_numIfEiiEEvT4_T3_PKS4_S6_PKS3_PKT2_21rocsparse_index_base_S6_S6_S8_S6_S6_S8_S6_PS9_PNS_15floating_traitsIS9_E6data_tEPKSG_,comdat
.Lfunc_end45:
	.size	_ZN9rocsparseL16kernel_calculateILi1024ELi1ELb0E21rocsparse_complex_numIfEiiEEvT4_T3_PKS4_S6_PKS3_PKT2_21rocsparse_index_base_S6_S6_S8_S6_S6_S8_S6_PS9_PNS_15floating_traitsIS9_E6data_tEPKSG_, .Lfunc_end45-_ZN9rocsparseL16kernel_calculateILi1024ELi1ELb0E21rocsparse_complex_numIfEiiEEvT4_T3_PKS4_S6_PKS3_PKT2_21rocsparse_index_base_S6_S6_S8_S6_S6_S8_S6_PS9_PNS_15floating_traitsIS9_E6data_tEPKSG_
                                        ; -- End function
	.set _ZN9rocsparseL16kernel_calculateILi1024ELi1ELb0E21rocsparse_complex_numIfEiiEEvT4_T3_PKS4_S6_PKS3_PKT2_21rocsparse_index_base_S6_S6_S8_S6_S6_S8_S6_PS9_PNS_15floating_traitsIS9_E6data_tEPKSG_.num_vgpr, 28
	.set _ZN9rocsparseL16kernel_calculateILi1024ELi1ELb0E21rocsparse_complex_numIfEiiEEvT4_T3_PKS4_S6_PKS3_PKT2_21rocsparse_index_base_S6_S6_S8_S6_S6_S8_S6_PS9_PNS_15floating_traitsIS9_E6data_tEPKSG_.num_agpr, 0
	.set _ZN9rocsparseL16kernel_calculateILi1024ELi1ELb0E21rocsparse_complex_numIfEiiEEvT4_T3_PKS4_S6_PKS3_PKT2_21rocsparse_index_base_S6_S6_S8_S6_S6_S8_S6_PS9_PNS_15floating_traitsIS9_E6data_tEPKSG_.numbered_sgpr, 31
	.set _ZN9rocsparseL16kernel_calculateILi1024ELi1ELb0E21rocsparse_complex_numIfEiiEEvT4_T3_PKS4_S6_PKS3_PKT2_21rocsparse_index_base_S6_S6_S8_S6_S6_S8_S6_PS9_PNS_15floating_traitsIS9_E6data_tEPKSG_.num_named_barrier, 0
	.set _ZN9rocsparseL16kernel_calculateILi1024ELi1ELb0E21rocsparse_complex_numIfEiiEEvT4_T3_PKS4_S6_PKS3_PKT2_21rocsparse_index_base_S6_S6_S8_S6_S6_S8_S6_PS9_PNS_15floating_traitsIS9_E6data_tEPKSG_.private_seg_size, 0
	.set _ZN9rocsparseL16kernel_calculateILi1024ELi1ELb0E21rocsparse_complex_numIfEiiEEvT4_T3_PKS4_S6_PKS3_PKT2_21rocsparse_index_base_S6_S6_S8_S6_S6_S8_S6_PS9_PNS_15floating_traitsIS9_E6data_tEPKSG_.uses_vcc, 1
	.set _ZN9rocsparseL16kernel_calculateILi1024ELi1ELb0E21rocsparse_complex_numIfEiiEEvT4_T3_PKS4_S6_PKS3_PKT2_21rocsparse_index_base_S6_S6_S8_S6_S6_S8_S6_PS9_PNS_15floating_traitsIS9_E6data_tEPKSG_.uses_flat_scratch, 0
	.set _ZN9rocsparseL16kernel_calculateILi1024ELi1ELb0E21rocsparse_complex_numIfEiiEEvT4_T3_PKS4_S6_PKS3_PKT2_21rocsparse_index_base_S6_S6_S8_S6_S6_S8_S6_PS9_PNS_15floating_traitsIS9_E6data_tEPKSG_.has_dyn_sized_stack, 0
	.set _ZN9rocsparseL16kernel_calculateILi1024ELi1ELb0E21rocsparse_complex_numIfEiiEEvT4_T3_PKS4_S6_PKS3_PKT2_21rocsparse_index_base_S6_S6_S8_S6_S6_S8_S6_PS9_PNS_15floating_traitsIS9_E6data_tEPKSG_.has_recursion, 0
	.set _ZN9rocsparseL16kernel_calculateILi1024ELi1ELb0E21rocsparse_complex_numIfEiiEEvT4_T3_PKS4_S6_PKS3_PKT2_21rocsparse_index_base_S6_S6_S8_S6_S6_S8_S6_PS9_PNS_15floating_traitsIS9_E6data_tEPKSG_.has_indirect_call, 0
	.section	.AMDGPU.csdata,"",@progbits
; Kernel info:
; codeLenInByte = 1380
; TotalNumSgprs: 37
; NumVgprs: 28
; NumAgprs: 0
; TotalNumVgprs: 28
; ScratchSize: 0
; MemoryBound: 0
; FloatMode: 240
; IeeeMode: 1
; LDSByteSize: 0 bytes/workgroup (compile time only)
; SGPRBlocks: 4
; VGPRBlocks: 3
; NumSGPRsForWavesPerEU: 37
; NumVGPRsForWavesPerEU: 28
; AccumOffset: 28
; Occupancy: 8
; WaveLimiterHint : 1
; COMPUTE_PGM_RSRC2:SCRATCH_EN: 0
; COMPUTE_PGM_RSRC2:USER_SGPR: 2
; COMPUTE_PGM_RSRC2:TRAP_HANDLER: 0
; COMPUTE_PGM_RSRC2:TGID_X_EN: 1
; COMPUTE_PGM_RSRC2:TGID_Y_EN: 0
; COMPUTE_PGM_RSRC2:TGID_Z_EN: 0
; COMPUTE_PGM_RSRC2:TIDIG_COMP_CNT: 0
; COMPUTE_PGM_RSRC3_GFX90A:ACCUM_OFFSET: 6
; COMPUTE_PGM_RSRC3_GFX90A:TG_SPLIT: 0
	.section	.text._ZN9rocsparseL16kernel_calculateILi1024ELi2ELb0E21rocsparse_complex_numIfEiiEEvT4_T3_PKS4_S6_PKS3_PKT2_21rocsparse_index_base_S6_S6_S8_S6_S6_S8_S6_PS9_PNS_15floating_traitsIS9_E6data_tEPKSG_,"axG",@progbits,_ZN9rocsparseL16kernel_calculateILi1024ELi2ELb0E21rocsparse_complex_numIfEiiEEvT4_T3_PKS4_S6_PKS3_PKT2_21rocsparse_index_base_S6_S6_S8_S6_S6_S8_S6_PS9_PNS_15floating_traitsIS9_E6data_tEPKSG_,comdat
	.globl	_ZN9rocsparseL16kernel_calculateILi1024ELi2ELb0E21rocsparse_complex_numIfEiiEEvT4_T3_PKS4_S6_PKS3_PKT2_21rocsparse_index_base_S6_S6_S8_S6_S6_S8_S6_PS9_PNS_15floating_traitsIS9_E6data_tEPKSG_ ; -- Begin function _ZN9rocsparseL16kernel_calculateILi1024ELi2ELb0E21rocsparse_complex_numIfEiiEEvT4_T3_PKS4_S6_PKS3_PKT2_21rocsparse_index_base_S6_S6_S8_S6_S6_S8_S6_PS9_PNS_15floating_traitsIS9_E6data_tEPKSG_
	.p2align	8
	.type	_ZN9rocsparseL16kernel_calculateILi1024ELi2ELb0E21rocsparse_complex_numIfEiiEEvT4_T3_PKS4_S6_PKS3_PKT2_21rocsparse_index_base_S6_S6_S8_S6_S6_S8_S6_PS9_PNS_15floating_traitsIS9_E6data_tEPKSG_,@function
_ZN9rocsparseL16kernel_calculateILi1024ELi2ELb0E21rocsparse_complex_numIfEiiEEvT4_T3_PKS4_S6_PKS3_PKT2_21rocsparse_index_base_S6_S6_S8_S6_S6_S8_S6_PS9_PNS_15floating_traitsIS9_E6data_tEPKSG_: ; @_ZN9rocsparseL16kernel_calculateILi1024ELi2ELb0E21rocsparse_complex_numIfEiiEEvT4_T3_PKS4_S6_PKS3_PKT2_21rocsparse_index_base_S6_S6_S8_S6_S6_S8_S6_PS9_PNS_15floating_traitsIS9_E6data_tEPKSG_
; %bb.0:
	s_load_dword s34, s[0:1], 0x0
	v_lshrrev_b32_e32 v1, 1, v0
	v_lshl_or_b32 v4, s2, 10, v1
	s_waitcnt lgkmcnt(0)
	v_cmp_gt_i32_e32 vcc, s34, v4
	s_and_saveexec_b64 s[2:3], vcc
	s_cbranch_execz .LBB46_40
; %bb.1:
	s_load_dwordx8 s[4:11], s[0:1], 0x8
	v_ashrrev_i32_e32 v5, 31, v4
	v_lshlrev_b64 v[2:3], 2, v[4:5]
	v_and_b32_e32 v0, 1, v0
	s_waitcnt lgkmcnt(0)
	v_lshl_add_u64 v[6:7], s[6:7], 0, v[2:3]
	v_lshl_add_u64 v[8:9], s[4:5], 0, v[2:3]
	global_load_dword v1, v[6:7], off
	global_load_dword v10, v[8:9], off
	s_load_dword s33, s[0:1], 0x28
	s_load_dwordx8 s[12:19], s[0:1], 0x50
	s_load_dwordx8 s[20:27], s[0:1], 0x30
	s_waitcnt lgkmcnt(0)
	v_subrev_u32_e32 v5, s33, v0
	s_waitcnt vmcnt(1)
	v_subrev_u32_e32 v22, s33, v1
	s_waitcnt vmcnt(0)
	v_add_u32_e32 v0, v5, v10
	v_cmp_lt_i32_e32 vcc, v0, v22
	s_and_saveexec_b64 s[4:5], vcc
	s_cbranch_execz .LBB46_20
; %bb.2:
	v_lshl_add_u64 v[10:11], s[22:23], 0, v[2:3]
	global_load_dword v1, v[10:11], off
	v_lshl_add_u64 v[10:11], s[20:21], 0, v[2:3]
	global_load_dword v10, v[10:11], off
	s_mov_b64 s[6:7], 0
	s_mov_b32 s35, 0xf800000
	v_mov_b32_e32 v23, 0x260
	s_movk_i32 s36, 0x1f8
	s_waitcnt vmcnt(1)
	v_subrev_u32_e32 v24, s33, v1
	s_waitcnt vmcnt(0)
	v_cmp_lt_i32_e64 s[0:1], v10, v1
	v_subrev_u32_e32 v25, s33, v10
	s_branch .LBB46_4
.LBB46_3:                               ;   in Loop: Header=BB46_4 Depth=1
	s_or_b64 exec, exec, s[2:3]
	v_add_u32_e32 v0, 2, v0
	v_cmp_ge_i32_e32 vcc, v0, v22
	s_or_b64 s[6:7], vcc, s[6:7]
	s_andn2_b64 exec, exec, s[6:7]
	s_cbranch_execz .LBB46_20
.LBB46_4:                               ; =>This Loop Header: Depth=1
                                        ;     Child Loop BB46_7 Depth 2
	v_ashrrev_i32_e32 v1, 31, v0
	v_lshl_add_u64 v[10:11], v[0:1], 2, s[8:9]
	global_load_dword v10, v[10:11], off
	s_waitcnt vmcnt(0)
	v_subrev_u32_e32 v14, s33, v10
	v_ashrrev_i32_e32 v15, 31, v14
	v_lshlrev_b64 v[12:13], 2, v[14:15]
	v_lshl_add_u64 v[10:11], s[22:23], 0, v[12:13]
	global_load_dword v19, v[10:11], off
	v_lshl_add_u64 v[16:17], s[12:13], 0, v[12:13]
	v_lshl_add_u64 v[12:13], s[26:27], 0, v[12:13]
	global_load_dword v18, v[12:13], off
	global_load_dword v15, v[16:17], off
	v_lshl_add_u64 v[10:11], v[0:1], 3, s[10:11]
	global_load_dwordx2 v[10:11], v[10:11], off
	v_mov_b32_e32 v17, 0
	v_mov_b32_e32 v16, v17
	s_waitcnt vmcnt(3)
	v_subrev_u32_e32 v12, s33, v19
	v_ashrrev_i32_e32 v13, 31, v12
	v_lshl_add_u64 v[12:13], v[12:13], 3, s[18:19]
	global_load_dwordx2 v[12:13], v[12:13], off
	s_waitcnt vmcnt(2)
	v_cmp_lt_i32_e32 vcc, v18, v15
	s_and_b64 s[2:3], s[0:1], vcc
	s_and_saveexec_b64 s[28:29], s[2:3]
	s_cbranch_execz .LBB46_10
; %bb.5:                                ;   in Loop: Header=BB46_4 Depth=1
	v_mov_b32_e32 v16, 0
	v_subrev_u32_e32 v15, s33, v15
	v_subrev_u32_e32 v18, s33, v18
	s_mov_b64 s[30:31], 0
	v_mov_b32_e32 v20, v25
	v_mov_b32_e32 v17, v16
	s_branch .LBB46_7
.LBB46_6:                               ;   in Loop: Header=BB46_7 Depth=2
	s_or_b64 exec, exec, s[2:3]
	v_cmp_le_i32_e32 vcc, v26, v27
	s_nop 1
	v_addc_co_u32_e32 v20, vcc, 0, v20, vcc
	v_cmp_ge_i32_e32 vcc, v26, v27
	s_nop 1
	v_addc_co_u32_e32 v18, vcc, 0, v18, vcc
	v_cmp_ge_i32_e32 vcc, v20, v24
	v_cmp_ge_i32_e64 s[2:3], v18, v15
	s_or_b64 s[2:3], vcc, s[2:3]
	s_and_b64 s[2:3], exec, s[2:3]
	s_or_b64 s[30:31], s[2:3], s[30:31]
	s_andn2_b64 exec, exec, s[30:31]
	s_cbranch_execz .LBB46_9
.LBB46_7:                               ;   Parent Loop BB46_4 Depth=1
                                        ; =>  This Inner Loop Header: Depth=2
	v_ashrrev_i32_e32 v21, 31, v20
	v_ashrrev_i32_e32 v19, 31, v18
	v_lshl_add_u64 v[26:27], v[20:21], 2, s[24:25]
	v_lshl_add_u64 v[28:29], v[18:19], 2, s[14:15]
	global_load_dword v26, v[26:27], off
	s_nop 0
	global_load_dword v27, v[28:29], off
	s_waitcnt vmcnt(0)
	v_cmp_eq_u32_e32 vcc, v26, v27
	s_and_saveexec_b64 s[2:3], vcc
	s_cbranch_execz .LBB46_6
; %bb.8:                                ;   in Loop: Header=BB46_7 Depth=2
	v_lshl_add_u64 v[28:29], v[18:19], 2, s[16:17]
	global_load_dword v28, v[28:29], off
	v_lshl_add_u64 v[30:31], v[20:21], 3, s[18:19]
	global_load_dwordx2 v[30:31], v[30:31], off
	s_waitcnt vmcnt(1)
	v_ashrrev_i32_e32 v29, 31, v28
	v_lshl_add_u64 v[28:29], v[28:29], 3, s[18:19]
	global_load_dwordx2 v[28:29], v[28:29], off
	s_waitcnt vmcnt(1)
	v_xor_b32_e32 v32, 0x80000000, v31
	v_mov_b32_e32 v33, v30
	s_waitcnt vmcnt(0)
	v_pk_fma_f32 v[16:17], v[30:31], v[28:29], v[16:17] op_sel_hi:[1,0,1]
	s_nop 0
	v_pk_fma_f32 v[16:17], v[32:33], v[28:29], v[16:17] op_sel:[0,1,0]
	s_branch .LBB46_6
.LBB46_9:                               ;   in Loop: Header=BB46_4 Depth=1
	s_or_b64 exec, exec, s[30:31]
.LBB46_10:                              ;   in Loop: Header=BB46_4 Depth=1
	s_or_b64 exec, exec, s[28:29]
	s_waitcnt vmcnt(1)
	v_pk_add_f32 v[10:11], v[10:11], v[16:17] neg_lo:[0,1] neg_hi:[0,1]
	v_cmp_gt_i32_e32 vcc, v4, v14
	s_and_saveexec_b64 s[2:3], vcc
	s_cbranch_execz .LBB46_12
; %bb.11:                               ;   in Loop: Header=BB46_4 Depth=1
	s_waitcnt vmcnt(0)
	v_mul_f32_e32 v14, v13, v13
	v_fmac_f32_e32 v14, v12, v12
	v_div_scale_f32 v15, s[28:29], v14, v14, 1.0
	v_rcp_f32_e32 v16, v15
	v_div_scale_f32 v17, vcc, 1.0, v14, 1.0
	v_fma_f32 v18, -v15, v16, 1.0
	v_fmac_f32_e32 v16, v18, v16
	v_mul_f32_e32 v18, v17, v16
	v_fma_f32 v19, -v15, v18, v17
	v_fmac_f32_e32 v18, v19, v16
	v_fma_f32 v15, -v15, v18, v17
	v_div_fmas_f32 v15, v15, v16, v18
	v_xor_b32_e32 v17, 0x80000000, v10
	v_mov_b32_e32 v16, v11
	v_pk_mul_f32 v[16:17], v[12:13], v[16:17] op_sel:[1,0]
	v_div_fixup_f32 v14, v15, v14, 1.0
	v_pk_fma_f32 v[10:11], v[10:11], v[12:13], v[16:17] op_sel_hi:[1,0,1]
	s_nop 0
	v_pk_mul_f32 v[10:11], v[14:15], v[10:11] op_sel_hi:[0,1]
.LBB46_12:                              ;   in Loop: Header=BB46_4 Depth=1
	s_or_b64 exec, exec, s[2:3]
	v_cmp_gt_f32_e32 vcc, 0, v10
                                        ; implicit-def: $vgpr14
	s_waitcnt vmcnt(0)
	s_nop 0
	v_cndmask_b32_e64 v12, v10, -v10, vcc
	v_cmp_gt_f32_e32 vcc, 0, v11
	s_nop 1
	v_cndmask_b32_e64 v13, v11, -v11, vcc
	v_cmp_ngt_f32_e32 vcc, v12, v13
	s_and_saveexec_b64 s[2:3], vcc
	s_xor_b64 s[28:29], exec, s[2:3]
	s_cbranch_execnz .LBB46_15
; %bb.13:                               ;   in Loop: Header=BB46_4 Depth=1
	s_andn2_saveexec_b64 s[28:29], s[28:29]
	s_cbranch_execnz .LBB46_18
.LBB46_14:                              ;   in Loop: Header=BB46_4 Depth=1
	s_or_b64 exec, exec, s[28:29]
	v_cmp_class_f32_e64 s[28:29], v14, s36
	s_and_saveexec_b64 s[2:3], s[28:29]
	s_cbranch_execz .LBB46_3
	s_branch .LBB46_19
.LBB46_15:                              ;   in Loop: Header=BB46_4 Depth=1
	v_mov_b32_e32 v14, 0
	v_cmp_neq_f32_e32 vcc, 0, v11
	s_and_saveexec_b64 s[30:31], vcc
	s_cbranch_execz .LBB46_17
; %bb.16:                               ;   in Loop: Header=BB46_4 Depth=1
	v_div_scale_f32 v14, s[2:3], v13, v13, v12
	v_rcp_f32_e32 v15, v14
	v_div_scale_f32 v16, vcc, v12, v13, v12
	v_fma_f32 v17, -v14, v15, 1.0
	v_fmac_f32_e32 v15, v17, v15
	v_mul_f32_e32 v17, v16, v15
	v_fma_f32 v18, -v14, v17, v16
	v_fmac_f32_e32 v17, v18, v15
	v_fma_f32 v14, -v14, v17, v16
	v_div_fmas_f32 v14, v14, v15, v17
	v_div_fixup_f32 v12, v14, v13, v12
	v_fma_f32 v12, v12, v12, 1.0
	v_mul_f32_e32 v14, 0x4f800000, v12
	v_cmp_gt_f32_e32 vcc, s35, v12
	s_nop 1
	v_cndmask_b32_e32 v12, v12, v14, vcc
	v_sqrt_f32_e32 v14, v12
	s_nop 0
	v_add_u32_e32 v15, -1, v14
	v_fma_f32 v16, -v15, v14, v12
	v_cmp_ge_f32_e64 s[2:3], 0, v16
	v_add_u32_e32 v16, 1, v14
	s_nop 0
	v_cndmask_b32_e64 v15, v14, v15, s[2:3]
	v_fma_f32 v14, -v16, v14, v12
	v_cmp_lt_f32_e64 s[2:3], 0, v14
	s_nop 1
	v_cndmask_b32_e64 v14, v15, v16, s[2:3]
	v_mul_f32_e32 v15, 0x37800000, v14
	v_cndmask_b32_e32 v14, v14, v15, vcc
	v_cmp_class_f32_e32 vcc, v12, v23
	s_nop 1
	v_cndmask_b32_e32 v12, v14, v12, vcc
	v_mul_f32_e32 v14, v13, v12
.LBB46_17:                              ;   in Loop: Header=BB46_4 Depth=1
	s_or_b64 exec, exec, s[30:31]
                                        ; implicit-def: $vgpr12
                                        ; implicit-def: $vgpr13
	s_andn2_saveexec_b64 s[28:29], s[28:29]
	s_cbranch_execz .LBB46_14
.LBB46_18:                              ;   in Loop: Header=BB46_4 Depth=1
	v_div_scale_f32 v14, s[2:3], v12, v12, v13
	v_rcp_f32_e32 v15, v14
	v_div_scale_f32 v16, vcc, v13, v12, v13
	v_fma_f32 v17, -v14, v15, 1.0
	v_fmac_f32_e32 v15, v17, v15
	v_mul_f32_e32 v17, v16, v15
	v_fma_f32 v18, -v14, v17, v16
	v_fmac_f32_e32 v17, v18, v15
	v_fma_f32 v14, -v14, v17, v16
	v_div_fmas_f32 v14, v14, v15, v17
	v_div_fixup_f32 v13, v14, v12, v13
	v_fma_f32 v13, v13, v13, 1.0
	v_mul_f32_e32 v14, 0x4f800000, v13
	v_cmp_gt_f32_e32 vcc, s35, v13
	s_nop 1
	v_cndmask_b32_e32 v13, v13, v14, vcc
	v_sqrt_f32_e32 v14, v13
	s_nop 0
	v_add_u32_e32 v15, -1, v14
	v_fma_f32 v16, -v15, v14, v13
	v_cmp_ge_f32_e64 s[2:3], 0, v16
	v_add_u32_e32 v16, 1, v14
	s_nop 0
	v_cndmask_b32_e64 v15, v14, v15, s[2:3]
	v_fma_f32 v14, -v16, v14, v13
	v_cmp_lt_f32_e64 s[2:3], 0, v14
	s_nop 1
	v_cndmask_b32_e64 v14, v15, v16, s[2:3]
	v_mul_f32_e32 v15, 0x37800000, v14
	v_cndmask_b32_e32 v14, v14, v15, vcc
	v_cmp_class_f32_e32 vcc, v13, v23
	s_nop 1
	v_cndmask_b32_e32 v13, v14, v13, vcc
	v_mul_f32_e32 v14, v12, v13
	s_or_b64 exec, exec, s[28:29]
	v_cmp_class_f32_e64 s[28:29], v14, s36
	s_and_saveexec_b64 s[2:3], s[28:29]
	s_cbranch_execz .LBB46_3
.LBB46_19:                              ;   in Loop: Header=BB46_4 Depth=1
	v_lshl_add_u64 v[12:13], v[0:1], 3, s[18:19]
	global_store_dwordx2 v[12:13], v[10:11], off
	s_branch .LBB46_3
.LBB46_20:
	s_or_b64 exec, exec, s[4:5]
	v_or_b32_e32 v14, 0x200, v4
	v_cmp_gt_i32_e32 vcc, s34, v14
	s_and_b64 exec, exec, vcc
	s_cbranch_execz .LBB46_40
; %bb.21:
	global_load_dword v0, v[6:7], off offset:2048
	global_load_dword v1, v[8:9], off offset:2048
	s_waitcnt vmcnt(1)
	v_subrev_u32_e32 v15, s33, v0
	s_waitcnt vmcnt(0)
	v_add_u32_e32 v0, v5, v1
	v_cmp_lt_i32_e32 vcc, v0, v15
	s_and_b64 exec, exec, vcc
	s_cbranch_execz .LBB46_40
; %bb.22:
	v_lshl_add_u64 v[4:5], s[22:23], 0, v[2:3]
	v_lshl_add_u64 v[2:3], s[20:21], 0, v[2:3]
	global_load_dword v1, v[4:5], off offset:2048
	s_mov_b64 s[4:5], 0
	global_load_dword v2, v[2:3], off offset:2048
	s_mov_b32 s28, 0xf800000
	v_mov_b32_e32 v16, 0x260
	s_movk_i32 s29, 0x1f8
	s_waitcnt vmcnt(1)
	v_subrev_u32_e32 v17, s33, v1
	s_waitcnt vmcnt(0)
	v_cmp_lt_i32_e64 s[0:1], v2, v1
	v_subrev_u32_e32 v18, s33, v2
	s_branch .LBB46_24
.LBB46_23:                              ;   in Loop: Header=BB46_24 Depth=1
	s_or_b64 exec, exec, s[2:3]
	v_add_u32_e32 v0, 2, v0
	v_cmp_ge_i32_e32 vcc, v0, v15
	s_or_b64 s[4:5], vcc, s[4:5]
	s_andn2_b64 exec, exec, s[4:5]
	s_cbranch_execz .LBB46_40
.LBB46_24:                              ; =>This Loop Header: Depth=1
                                        ;     Child Loop BB46_27 Depth 2
	v_ashrrev_i32_e32 v1, 31, v0
	v_lshl_add_u64 v[2:3], v[0:1], 2, s[8:9]
	global_load_dword v2, v[2:3], off
	s_waitcnt vmcnt(0)
	v_subrev_u32_e32 v6, s33, v2
	v_ashrrev_i32_e32 v7, 31, v6
	v_lshlrev_b64 v[4:5], 2, v[6:7]
	v_lshl_add_u64 v[2:3], s[22:23], 0, v[4:5]
	global_load_dword v11, v[2:3], off
	v_lshl_add_u64 v[8:9], s[12:13], 0, v[4:5]
	v_lshl_add_u64 v[4:5], s[26:27], 0, v[4:5]
	global_load_dword v10, v[4:5], off
	global_load_dword v7, v[8:9], off
	v_lshl_add_u64 v[2:3], v[0:1], 3, s[10:11]
	global_load_dwordx2 v[2:3], v[2:3], off
	v_mov_b32_e32 v9, 0
	v_mov_b32_e32 v8, v9
	s_waitcnt vmcnt(3)
	v_subrev_u32_e32 v4, s33, v11
	v_ashrrev_i32_e32 v5, 31, v4
	v_lshl_add_u64 v[4:5], v[4:5], 3, s[18:19]
	global_load_dwordx2 v[4:5], v[4:5], off
	s_waitcnt vmcnt(2)
	v_cmp_lt_i32_e32 vcc, v10, v7
	s_and_b64 s[2:3], s[0:1], vcc
	s_and_saveexec_b64 s[6:7], s[2:3]
	s_cbranch_execz .LBB46_30
; %bb.25:                               ;   in Loop: Header=BB46_24 Depth=1
	v_mov_b32_e32 v8, 0
	v_subrev_u32_e32 v7, s33, v7
	v_subrev_u32_e32 v10, s33, v10
	s_mov_b64 s[20:21], 0
	v_mov_b32_e32 v12, v18
	v_mov_b32_e32 v9, v8
	s_branch .LBB46_27
.LBB46_26:                              ;   in Loop: Header=BB46_27 Depth=2
	s_or_b64 exec, exec, s[2:3]
	v_cmp_le_i32_e32 vcc, v19, v20
	s_nop 1
	v_addc_co_u32_e32 v12, vcc, 0, v12, vcc
	v_cmp_ge_i32_e32 vcc, v19, v20
	s_nop 1
	v_addc_co_u32_e32 v10, vcc, 0, v10, vcc
	v_cmp_ge_i32_e32 vcc, v12, v17
	v_cmp_ge_i32_e64 s[2:3], v10, v7
	s_or_b64 s[2:3], vcc, s[2:3]
	s_and_b64 s[2:3], exec, s[2:3]
	s_or_b64 s[20:21], s[2:3], s[20:21]
	s_andn2_b64 exec, exec, s[20:21]
	s_cbranch_execz .LBB46_29
.LBB46_27:                              ;   Parent Loop BB46_24 Depth=1
                                        ; =>  This Inner Loop Header: Depth=2
	v_ashrrev_i32_e32 v13, 31, v12
	v_lshl_add_u64 v[20:21], v[12:13], 2, s[24:25]
	v_ashrrev_i32_e32 v11, 31, v10
	global_load_dword v19, v[20:21], off
	v_lshl_add_u64 v[20:21], v[10:11], 2, s[14:15]
	global_load_dword v20, v[20:21], off
	s_waitcnt vmcnt(0)
	v_cmp_eq_u32_e32 vcc, v19, v20
	s_and_saveexec_b64 s[2:3], vcc
	s_cbranch_execz .LBB46_26
; %bb.28:                               ;   in Loop: Header=BB46_27 Depth=2
	v_lshl_add_u64 v[22:23], v[10:11], 2, s[16:17]
	global_load_dword v22, v[22:23], off
	v_lshl_add_u64 v[24:25], v[12:13], 3, s[18:19]
	global_load_dwordx2 v[24:25], v[24:25], off
	s_waitcnt vmcnt(1)
	v_ashrrev_i32_e32 v23, 31, v22
	v_lshl_add_u64 v[22:23], v[22:23], 3, s[18:19]
	global_load_dwordx2 v[22:23], v[22:23], off
	s_waitcnt vmcnt(1)
	v_xor_b32_e32 v26, 0x80000000, v25
	v_mov_b32_e32 v27, v24
	s_waitcnt vmcnt(0)
	v_pk_fma_f32 v[8:9], v[24:25], v[22:23], v[8:9] op_sel_hi:[1,0,1]
	s_nop 0
	v_pk_fma_f32 v[8:9], v[26:27], v[22:23], v[8:9] op_sel:[0,1,0]
	s_branch .LBB46_26
.LBB46_29:                              ;   in Loop: Header=BB46_24 Depth=1
	s_or_b64 exec, exec, s[20:21]
.LBB46_30:                              ;   in Loop: Header=BB46_24 Depth=1
	s_or_b64 exec, exec, s[6:7]
	s_waitcnt vmcnt(1)
	v_pk_add_f32 v[2:3], v[2:3], v[8:9] neg_lo:[0,1] neg_hi:[0,1]
	v_cmp_gt_i32_e32 vcc, v14, v6
	s_and_saveexec_b64 s[2:3], vcc
	s_cbranch_execz .LBB46_32
; %bb.31:                               ;   in Loop: Header=BB46_24 Depth=1
	s_waitcnt vmcnt(0)
	v_mul_f32_e32 v6, v5, v5
	v_fmac_f32_e32 v6, v4, v4
	v_div_scale_f32 v7, s[6:7], v6, v6, 1.0
	v_rcp_f32_e32 v8, v7
	v_div_scale_f32 v9, vcc, 1.0, v6, 1.0
	v_fma_f32 v10, -v7, v8, 1.0
	v_fmac_f32_e32 v8, v10, v8
	v_mul_f32_e32 v10, v9, v8
	v_fma_f32 v11, -v7, v10, v9
	v_fmac_f32_e32 v10, v11, v8
	v_fma_f32 v7, -v7, v10, v9
	v_div_fmas_f32 v7, v7, v8, v10
	v_xor_b32_e32 v9, 0x80000000, v2
	v_mov_b32_e32 v8, v3
	v_pk_mul_f32 v[8:9], v[4:5], v[8:9] op_sel:[1,0]
	v_div_fixup_f32 v6, v7, v6, 1.0
	v_pk_fma_f32 v[2:3], v[2:3], v[4:5], v[8:9] op_sel_hi:[1,0,1]
	s_nop 0
	v_pk_mul_f32 v[2:3], v[6:7], v[2:3] op_sel_hi:[0,1]
.LBB46_32:                              ;   in Loop: Header=BB46_24 Depth=1
	s_or_b64 exec, exec, s[2:3]
	v_cmp_gt_f32_e32 vcc, 0, v2
                                        ; implicit-def: $vgpr6
	s_waitcnt vmcnt(0)
	s_nop 0
	v_cndmask_b32_e64 v4, v2, -v2, vcc
	v_cmp_gt_f32_e32 vcc, 0, v3
	s_nop 1
	v_cndmask_b32_e64 v5, v3, -v3, vcc
	v_cmp_ngt_f32_e32 vcc, v4, v5
	s_and_saveexec_b64 s[2:3], vcc
	s_xor_b64 s[6:7], exec, s[2:3]
	s_cbranch_execnz .LBB46_35
; %bb.33:                               ;   in Loop: Header=BB46_24 Depth=1
	s_andn2_saveexec_b64 s[6:7], s[6:7]
	s_cbranch_execnz .LBB46_38
.LBB46_34:                              ;   in Loop: Header=BB46_24 Depth=1
	s_or_b64 exec, exec, s[6:7]
	v_cmp_class_f32_e64 s[6:7], v6, s29
	s_and_saveexec_b64 s[2:3], s[6:7]
	s_cbranch_execz .LBB46_23
	s_branch .LBB46_39
.LBB46_35:                              ;   in Loop: Header=BB46_24 Depth=1
	v_mov_b32_e32 v6, 0
	v_cmp_neq_f32_e32 vcc, 0, v3
	s_and_saveexec_b64 s[20:21], vcc
	s_cbranch_execz .LBB46_37
; %bb.36:                               ;   in Loop: Header=BB46_24 Depth=1
	v_div_scale_f32 v6, s[2:3], v5, v5, v4
	v_rcp_f32_e32 v7, v6
	v_div_scale_f32 v8, vcc, v4, v5, v4
	v_fma_f32 v9, -v6, v7, 1.0
	v_fmac_f32_e32 v7, v9, v7
	v_mul_f32_e32 v9, v8, v7
	v_fma_f32 v10, -v6, v9, v8
	v_fmac_f32_e32 v9, v10, v7
	v_fma_f32 v6, -v6, v9, v8
	v_div_fmas_f32 v6, v6, v7, v9
	v_div_fixup_f32 v4, v6, v5, v4
	v_fma_f32 v4, v4, v4, 1.0
	v_mul_f32_e32 v6, 0x4f800000, v4
	v_cmp_gt_f32_e32 vcc, s28, v4
	s_nop 1
	v_cndmask_b32_e32 v4, v4, v6, vcc
	v_sqrt_f32_e32 v6, v4
	s_nop 0
	v_add_u32_e32 v7, -1, v6
	v_fma_f32 v8, -v7, v6, v4
	v_cmp_ge_f32_e64 s[2:3], 0, v8
	v_add_u32_e32 v8, 1, v6
	s_nop 0
	v_cndmask_b32_e64 v7, v6, v7, s[2:3]
	v_fma_f32 v6, -v8, v6, v4
	v_cmp_lt_f32_e64 s[2:3], 0, v6
	s_nop 1
	v_cndmask_b32_e64 v6, v7, v8, s[2:3]
	v_mul_f32_e32 v7, 0x37800000, v6
	v_cndmask_b32_e32 v6, v6, v7, vcc
	v_cmp_class_f32_e32 vcc, v4, v16
	s_nop 1
	v_cndmask_b32_e32 v4, v6, v4, vcc
	v_mul_f32_e32 v6, v5, v4
.LBB46_37:                              ;   in Loop: Header=BB46_24 Depth=1
	s_or_b64 exec, exec, s[20:21]
                                        ; implicit-def: $vgpr4
                                        ; implicit-def: $vgpr5
	s_andn2_saveexec_b64 s[6:7], s[6:7]
	s_cbranch_execz .LBB46_34
.LBB46_38:                              ;   in Loop: Header=BB46_24 Depth=1
	v_div_scale_f32 v6, s[2:3], v4, v4, v5
	v_rcp_f32_e32 v7, v6
	v_div_scale_f32 v8, vcc, v5, v4, v5
	v_fma_f32 v9, -v6, v7, 1.0
	v_fmac_f32_e32 v7, v9, v7
	v_mul_f32_e32 v9, v8, v7
	v_fma_f32 v10, -v6, v9, v8
	v_fmac_f32_e32 v9, v10, v7
	v_fma_f32 v6, -v6, v9, v8
	v_div_fmas_f32 v6, v6, v7, v9
	v_div_fixup_f32 v5, v6, v4, v5
	v_fma_f32 v5, v5, v5, 1.0
	v_mul_f32_e32 v6, 0x4f800000, v5
	v_cmp_gt_f32_e32 vcc, s28, v5
	s_nop 1
	v_cndmask_b32_e32 v5, v5, v6, vcc
	v_sqrt_f32_e32 v6, v5
	s_nop 0
	v_add_u32_e32 v7, -1, v6
	v_fma_f32 v8, -v7, v6, v5
	v_cmp_ge_f32_e64 s[2:3], 0, v8
	v_add_u32_e32 v8, 1, v6
	s_nop 0
	v_cndmask_b32_e64 v7, v6, v7, s[2:3]
	v_fma_f32 v6, -v8, v6, v5
	v_cmp_lt_f32_e64 s[2:3], 0, v6
	s_nop 1
	v_cndmask_b32_e64 v6, v7, v8, s[2:3]
	v_mul_f32_e32 v7, 0x37800000, v6
	v_cndmask_b32_e32 v6, v6, v7, vcc
	v_cmp_class_f32_e32 vcc, v5, v16
	s_nop 1
	v_cndmask_b32_e32 v5, v6, v5, vcc
	v_mul_f32_e32 v6, v4, v5
	s_or_b64 exec, exec, s[6:7]
	v_cmp_class_f32_e64 s[6:7], v6, s29
	s_and_saveexec_b64 s[2:3], s[6:7]
	s_cbranch_execz .LBB46_23
.LBB46_39:                              ;   in Loop: Header=BB46_24 Depth=1
	v_lshl_add_u64 v[4:5], v[0:1], 3, s[18:19]
	global_store_dwordx2 v[4:5], v[2:3], off
	s_branch .LBB46_23
.LBB46_40:
	s_endpgm
	.section	.rodata,"a",@progbits
	.p2align	6, 0x0
	.amdhsa_kernel _ZN9rocsparseL16kernel_calculateILi1024ELi2ELb0E21rocsparse_complex_numIfEiiEEvT4_T3_PKS4_S6_PKS3_PKT2_21rocsparse_index_base_S6_S6_S8_S6_S6_S8_S6_PS9_PNS_15floating_traitsIS9_E6data_tEPKSG_
		.amdhsa_group_segment_fixed_size 0
		.amdhsa_private_segment_fixed_size 0
		.amdhsa_kernarg_size 128
		.amdhsa_user_sgpr_count 2
		.amdhsa_user_sgpr_dispatch_ptr 0
		.amdhsa_user_sgpr_queue_ptr 0
		.amdhsa_user_sgpr_kernarg_segment_ptr 1
		.amdhsa_user_sgpr_dispatch_id 0
		.amdhsa_user_sgpr_kernarg_preload_length 0
		.amdhsa_user_sgpr_kernarg_preload_offset 0
		.amdhsa_user_sgpr_private_segment_size 0
		.amdhsa_uses_dynamic_stack 0
		.amdhsa_enable_private_segment 0
		.amdhsa_system_sgpr_workgroup_id_x 1
		.amdhsa_system_sgpr_workgroup_id_y 0
		.amdhsa_system_sgpr_workgroup_id_z 0
		.amdhsa_system_sgpr_workgroup_info 0
		.amdhsa_system_vgpr_workitem_id 0
		.amdhsa_next_free_vgpr 34
		.amdhsa_next_free_sgpr 37
		.amdhsa_accum_offset 36
		.amdhsa_reserve_vcc 1
		.amdhsa_float_round_mode_32 0
		.amdhsa_float_round_mode_16_64 0
		.amdhsa_float_denorm_mode_32 3
		.amdhsa_float_denorm_mode_16_64 3
		.amdhsa_dx10_clamp 1
		.amdhsa_ieee_mode 1
		.amdhsa_fp16_overflow 0
		.amdhsa_tg_split 0
		.amdhsa_exception_fp_ieee_invalid_op 0
		.amdhsa_exception_fp_denorm_src 0
		.amdhsa_exception_fp_ieee_div_zero 0
		.amdhsa_exception_fp_ieee_overflow 0
		.amdhsa_exception_fp_ieee_underflow 0
		.amdhsa_exception_fp_ieee_inexact 0
		.amdhsa_exception_int_div_zero 0
	.end_amdhsa_kernel
	.section	.text._ZN9rocsparseL16kernel_calculateILi1024ELi2ELb0E21rocsparse_complex_numIfEiiEEvT4_T3_PKS4_S6_PKS3_PKT2_21rocsparse_index_base_S6_S6_S8_S6_S6_S8_S6_PS9_PNS_15floating_traitsIS9_E6data_tEPKSG_,"axG",@progbits,_ZN9rocsparseL16kernel_calculateILi1024ELi2ELb0E21rocsparse_complex_numIfEiiEEvT4_T3_PKS4_S6_PKS3_PKT2_21rocsparse_index_base_S6_S6_S8_S6_S6_S8_S6_PS9_PNS_15floating_traitsIS9_E6data_tEPKSG_,comdat
.Lfunc_end46:
	.size	_ZN9rocsparseL16kernel_calculateILi1024ELi2ELb0E21rocsparse_complex_numIfEiiEEvT4_T3_PKS4_S6_PKS3_PKT2_21rocsparse_index_base_S6_S6_S8_S6_S6_S8_S6_PS9_PNS_15floating_traitsIS9_E6data_tEPKSG_, .Lfunc_end46-_ZN9rocsparseL16kernel_calculateILi1024ELi2ELb0E21rocsparse_complex_numIfEiiEEvT4_T3_PKS4_S6_PKS3_PKT2_21rocsparse_index_base_S6_S6_S8_S6_S6_S8_S6_PS9_PNS_15floating_traitsIS9_E6data_tEPKSG_
                                        ; -- End function
	.set _ZN9rocsparseL16kernel_calculateILi1024ELi2ELb0E21rocsparse_complex_numIfEiiEEvT4_T3_PKS4_S6_PKS3_PKT2_21rocsparse_index_base_S6_S6_S8_S6_S6_S8_S6_PS9_PNS_15floating_traitsIS9_E6data_tEPKSG_.num_vgpr, 34
	.set _ZN9rocsparseL16kernel_calculateILi1024ELi2ELb0E21rocsparse_complex_numIfEiiEEvT4_T3_PKS4_S6_PKS3_PKT2_21rocsparse_index_base_S6_S6_S8_S6_S6_S8_S6_PS9_PNS_15floating_traitsIS9_E6data_tEPKSG_.num_agpr, 0
	.set _ZN9rocsparseL16kernel_calculateILi1024ELi2ELb0E21rocsparse_complex_numIfEiiEEvT4_T3_PKS4_S6_PKS3_PKT2_21rocsparse_index_base_S6_S6_S8_S6_S6_S8_S6_PS9_PNS_15floating_traitsIS9_E6data_tEPKSG_.numbered_sgpr, 37
	.set _ZN9rocsparseL16kernel_calculateILi1024ELi2ELb0E21rocsparse_complex_numIfEiiEEvT4_T3_PKS4_S6_PKS3_PKT2_21rocsparse_index_base_S6_S6_S8_S6_S6_S8_S6_PS9_PNS_15floating_traitsIS9_E6data_tEPKSG_.num_named_barrier, 0
	.set _ZN9rocsparseL16kernel_calculateILi1024ELi2ELb0E21rocsparse_complex_numIfEiiEEvT4_T3_PKS4_S6_PKS3_PKT2_21rocsparse_index_base_S6_S6_S8_S6_S6_S8_S6_PS9_PNS_15floating_traitsIS9_E6data_tEPKSG_.private_seg_size, 0
	.set _ZN9rocsparseL16kernel_calculateILi1024ELi2ELb0E21rocsparse_complex_numIfEiiEEvT4_T3_PKS4_S6_PKS3_PKT2_21rocsparse_index_base_S6_S6_S8_S6_S6_S8_S6_PS9_PNS_15floating_traitsIS9_E6data_tEPKSG_.uses_vcc, 1
	.set _ZN9rocsparseL16kernel_calculateILi1024ELi2ELb0E21rocsparse_complex_numIfEiiEEvT4_T3_PKS4_S6_PKS3_PKT2_21rocsparse_index_base_S6_S6_S8_S6_S6_S8_S6_PS9_PNS_15floating_traitsIS9_E6data_tEPKSG_.uses_flat_scratch, 0
	.set _ZN9rocsparseL16kernel_calculateILi1024ELi2ELb0E21rocsparse_complex_numIfEiiEEvT4_T3_PKS4_S6_PKS3_PKT2_21rocsparse_index_base_S6_S6_S8_S6_S6_S8_S6_PS9_PNS_15floating_traitsIS9_E6data_tEPKSG_.has_dyn_sized_stack, 0
	.set _ZN9rocsparseL16kernel_calculateILi1024ELi2ELb0E21rocsparse_complex_numIfEiiEEvT4_T3_PKS4_S6_PKS3_PKT2_21rocsparse_index_base_S6_S6_S8_S6_S6_S8_S6_PS9_PNS_15floating_traitsIS9_E6data_tEPKSG_.has_recursion, 0
	.set _ZN9rocsparseL16kernel_calculateILi1024ELi2ELb0E21rocsparse_complex_numIfEiiEEvT4_T3_PKS4_S6_PKS3_PKT2_21rocsparse_index_base_S6_S6_S8_S6_S6_S8_S6_PS9_PNS_15floating_traitsIS9_E6data_tEPKSG_.has_indirect_call, 0
	.section	.AMDGPU.csdata,"",@progbits
; Kernel info:
; codeLenInByte = 2680
; TotalNumSgprs: 43
; NumVgprs: 34
; NumAgprs: 0
; TotalNumVgprs: 34
; ScratchSize: 0
; MemoryBound: 0
; FloatMode: 240
; IeeeMode: 1
; LDSByteSize: 0 bytes/workgroup (compile time only)
; SGPRBlocks: 5
; VGPRBlocks: 4
; NumSGPRsForWavesPerEU: 43
; NumVGPRsForWavesPerEU: 34
; AccumOffset: 36
; Occupancy: 8
; WaveLimiterHint : 1
; COMPUTE_PGM_RSRC2:SCRATCH_EN: 0
; COMPUTE_PGM_RSRC2:USER_SGPR: 2
; COMPUTE_PGM_RSRC2:TRAP_HANDLER: 0
; COMPUTE_PGM_RSRC2:TGID_X_EN: 1
; COMPUTE_PGM_RSRC2:TGID_Y_EN: 0
; COMPUTE_PGM_RSRC2:TGID_Z_EN: 0
; COMPUTE_PGM_RSRC2:TIDIG_COMP_CNT: 0
; COMPUTE_PGM_RSRC3_GFX90A:ACCUM_OFFSET: 8
; COMPUTE_PGM_RSRC3_GFX90A:TG_SPLIT: 0
	.section	.text._ZN9rocsparseL16kernel_calculateILi1024ELi4ELb0E21rocsparse_complex_numIfEiiEEvT4_T3_PKS4_S6_PKS3_PKT2_21rocsparse_index_base_S6_S6_S8_S6_S6_S8_S6_PS9_PNS_15floating_traitsIS9_E6data_tEPKSG_,"axG",@progbits,_ZN9rocsparseL16kernel_calculateILi1024ELi4ELb0E21rocsparse_complex_numIfEiiEEvT4_T3_PKS4_S6_PKS3_PKT2_21rocsparse_index_base_S6_S6_S8_S6_S6_S8_S6_PS9_PNS_15floating_traitsIS9_E6data_tEPKSG_,comdat
	.globl	_ZN9rocsparseL16kernel_calculateILi1024ELi4ELb0E21rocsparse_complex_numIfEiiEEvT4_T3_PKS4_S6_PKS3_PKT2_21rocsparse_index_base_S6_S6_S8_S6_S6_S8_S6_PS9_PNS_15floating_traitsIS9_E6data_tEPKSG_ ; -- Begin function _ZN9rocsparseL16kernel_calculateILi1024ELi4ELb0E21rocsparse_complex_numIfEiiEEvT4_T3_PKS4_S6_PKS3_PKT2_21rocsparse_index_base_S6_S6_S8_S6_S6_S8_S6_PS9_PNS_15floating_traitsIS9_E6data_tEPKSG_
	.p2align	8
	.type	_ZN9rocsparseL16kernel_calculateILi1024ELi4ELb0E21rocsparse_complex_numIfEiiEEvT4_T3_PKS4_S6_PKS3_PKT2_21rocsparse_index_base_S6_S6_S8_S6_S6_S8_S6_PS9_PNS_15floating_traitsIS9_E6data_tEPKSG_,@function
_ZN9rocsparseL16kernel_calculateILi1024ELi4ELb0E21rocsparse_complex_numIfEiiEEvT4_T3_PKS4_S6_PKS3_PKT2_21rocsparse_index_base_S6_S6_S8_S6_S6_S8_S6_PS9_PNS_15floating_traitsIS9_E6data_tEPKSG_: ; @_ZN9rocsparseL16kernel_calculateILi1024ELi4ELb0E21rocsparse_complex_numIfEiiEEvT4_T3_PKS4_S6_PKS3_PKT2_21rocsparse_index_base_S6_S6_S8_S6_S6_S8_S6_PS9_PNS_15floating_traitsIS9_E6data_tEPKSG_
; %bb.0:
	s_load_dword s33, s[0:1], 0x0
	v_lshrrev_b32_e32 v1, 2, v0
	v_lshl_or_b32 v16, s2, 10, v1
	s_waitcnt lgkmcnt(0)
	v_cmp_gt_i32_e32 vcc, s33, v16
	s_and_saveexec_b64 s[2:3], vcc
	s_cbranch_execz .LBB47_23
; %bb.1:
	s_load_dword s38, s[0:1], 0x28
	s_load_dwordx8 s[4:11], s[0:1], 0x50
	s_load_dwordx8 s[12:19], s[0:1], 0x30
	;; [unrolled: 1-line block ×3, first 2 shown]
	v_and_b32_e32 v0, 3, v0
	s_waitcnt lgkmcnt(0)
	v_subrev_u32_e32 v17, s38, v0
	s_mov_b32 s39, 0
	s_mov_b32 s40, 0xf800000
	v_mov_b32_e32 v18, 0x260
	s_movk_i32 s41, 0x1f8
	s_branch .LBB47_3
.LBB47_2:                               ;   in Loop: Header=BB47_3 Depth=1
	s_or_b64 exec, exec, s[28:29]
	s_add_i32 s39, s39, 1
	s_cmp_lg_u32 s39, 4
	s_cbranch_scc0 .LBB47_23
.LBB47_3:                               ; =>This Loop Header: Depth=1
                                        ;     Child Loop BB47_7 Depth 2
                                        ;       Child Loop BB47_10 Depth 3
	v_lshl_add_u32 v0, s39, 8, v16
	v_cmp_gt_i32_e32 vcc, s33, v0
	s_and_saveexec_b64 s[28:29], vcc
	s_cbranch_execz .LBB47_2
; %bb.4:                                ;   in Loop: Header=BB47_3 Depth=1
	v_ashrrev_i32_e32 v1, 31, v0
	v_lshlrev_b64 v[4:5], 2, v[0:1]
	v_lshl_add_u64 v[2:3], s[22:23], 0, v[4:5]
	global_load_dword v1, v[2:3], off
	v_lshl_add_u64 v[2:3], s[20:21], 0, v[4:5]
	global_load_dword v2, v[2:3], off
	s_waitcnt vmcnt(1)
	v_subrev_u32_e32 v1, s38, v1
	s_waitcnt vmcnt(0)
	v_add_u32_e32 v2, v17, v2
	v_cmp_lt_i32_e32 vcc, v2, v1
	s_and_b64 exec, exec, vcc
	s_cbranch_execz .LBB47_2
; %bb.5:                                ;   in Loop: Header=BB47_3 Depth=1
	v_lshl_add_u64 v[6:7], s[14:15], 0, v[4:5]
	v_lshl_add_u64 v[4:5], s[12:13], 0, v[4:5]
	global_load_dword v3, v[6:7], off
	s_mov_b64 s[30:31], 0
	global_load_dword v4, v[4:5], off
	s_waitcnt vmcnt(1)
	v_subrev_u32_e32 v19, s38, v3
	s_waitcnt vmcnt(0)
	v_cmp_lt_i32_e64 s[0:1], v4, v3
	v_subrev_u32_e32 v20, s38, v4
	s_branch .LBB47_7
.LBB47_6:                               ;   in Loop: Header=BB47_7 Depth=2
	s_or_b64 exec, exec, s[2:3]
	v_add_u32_e32 v2, 4, v2
	v_cmp_ge_i32_e32 vcc, v2, v1
	s_or_b64 s[30:31], vcc, s[30:31]
	s_andn2_b64 exec, exec, s[30:31]
	s_cbranch_execz .LBB47_2
.LBB47_7:                               ;   Parent Loop BB47_3 Depth=1
                                        ; =>  This Loop Header: Depth=2
                                        ;       Child Loop BB47_10 Depth 3
	v_ashrrev_i32_e32 v3, 31, v2
	v_lshl_add_u64 v[4:5], v[2:3], 2, s[24:25]
	global_load_dword v4, v[4:5], off
	s_waitcnt vmcnt(0)
	v_subrev_u32_e32 v8, s38, v4
	v_ashrrev_i32_e32 v9, 31, v8
	v_lshlrev_b64 v[6:7], 2, v[8:9]
	v_lshl_add_u64 v[4:5], s[14:15], 0, v[6:7]
	global_load_dword v13, v[4:5], off
	v_lshl_add_u64 v[10:11], s[4:5], 0, v[6:7]
	v_lshl_add_u64 v[6:7], s[18:19], 0, v[6:7]
	global_load_dword v12, v[6:7], off
	global_load_dword v9, v[10:11], off
	v_lshl_add_u64 v[4:5], v[2:3], 3, s[26:27]
	global_load_dwordx2 v[4:5], v[4:5], off
	v_mov_b32_e32 v11, 0
	v_mov_b32_e32 v10, v11
	s_waitcnt vmcnt(3)
	v_subrev_u32_e32 v6, s38, v13
	v_ashrrev_i32_e32 v7, 31, v6
	v_lshl_add_u64 v[6:7], v[6:7], 3, s[10:11]
	global_load_dwordx2 v[6:7], v[6:7], off
	s_waitcnt vmcnt(2)
	v_cmp_lt_i32_e32 vcc, v12, v9
	s_and_b64 s[2:3], s[0:1], vcc
	s_and_saveexec_b64 s[34:35], s[2:3]
	s_cbranch_execz .LBB47_13
; %bb.8:                                ;   in Loop: Header=BB47_7 Depth=2
	v_mov_b32_e32 v10, 0
	v_subrev_u32_e32 v9, s38, v9
	v_subrev_u32_e32 v12, s38, v12
	s_mov_b64 s[36:37], 0
	v_mov_b32_e32 v14, v20
	v_mov_b32_e32 v11, v10
	s_branch .LBB47_10
.LBB47_9:                               ;   in Loop: Header=BB47_10 Depth=3
	s_or_b64 exec, exec, s[2:3]
	v_cmp_le_i32_e32 vcc, v21, v22
	s_nop 1
	v_addc_co_u32_e32 v14, vcc, 0, v14, vcc
	v_cmp_ge_i32_e32 vcc, v21, v22
	s_nop 1
	v_addc_co_u32_e32 v12, vcc, 0, v12, vcc
	v_cmp_ge_i32_e32 vcc, v14, v19
	v_cmp_ge_i32_e64 s[2:3], v12, v9
	s_or_b64 s[2:3], vcc, s[2:3]
	s_and_b64 s[2:3], exec, s[2:3]
	s_or_b64 s[36:37], s[2:3], s[36:37]
	s_andn2_b64 exec, exec, s[36:37]
	s_cbranch_execz .LBB47_12
.LBB47_10:                              ;   Parent Loop BB47_3 Depth=1
                                        ;     Parent Loop BB47_7 Depth=2
                                        ; =>    This Inner Loop Header: Depth=3
	v_ashrrev_i32_e32 v15, 31, v14
	v_lshl_add_u64 v[22:23], v[14:15], 2, s[16:17]
	v_ashrrev_i32_e32 v13, 31, v12
	global_load_dword v21, v[22:23], off
	v_lshl_add_u64 v[22:23], v[12:13], 2, s[6:7]
	global_load_dword v22, v[22:23], off
	s_waitcnt vmcnt(0)
	v_cmp_eq_u32_e32 vcc, v21, v22
	s_and_saveexec_b64 s[2:3], vcc
	s_cbranch_execz .LBB47_9
; %bb.11:                               ;   in Loop: Header=BB47_10 Depth=3
	v_lshl_add_u64 v[24:25], v[12:13], 2, s[8:9]
	global_load_dword v24, v[24:25], off
	v_lshl_add_u64 v[26:27], v[14:15], 3, s[10:11]
	global_load_dwordx2 v[26:27], v[26:27], off
	s_waitcnt vmcnt(1)
	v_ashrrev_i32_e32 v25, 31, v24
	v_lshl_add_u64 v[24:25], v[24:25], 3, s[10:11]
	global_load_dwordx2 v[24:25], v[24:25], off
	s_waitcnt vmcnt(1)
	v_xor_b32_e32 v28, 0x80000000, v27
	v_mov_b32_e32 v29, v26
	s_waitcnt vmcnt(0)
	v_pk_fma_f32 v[10:11], v[26:27], v[24:25], v[10:11] op_sel_hi:[1,0,1]
	s_nop 0
	v_pk_fma_f32 v[10:11], v[28:29], v[24:25], v[10:11] op_sel:[0,1,0]
	s_branch .LBB47_9
.LBB47_12:                              ;   in Loop: Header=BB47_7 Depth=2
	s_or_b64 exec, exec, s[36:37]
.LBB47_13:                              ;   in Loop: Header=BB47_7 Depth=2
	s_or_b64 exec, exec, s[34:35]
	s_waitcnt vmcnt(1)
	v_pk_add_f32 v[4:5], v[4:5], v[10:11] neg_lo:[0,1] neg_hi:[0,1]
	v_cmp_gt_i32_e32 vcc, v0, v8
	s_and_saveexec_b64 s[2:3], vcc
	s_cbranch_execz .LBB47_15
; %bb.14:                               ;   in Loop: Header=BB47_7 Depth=2
	s_waitcnt vmcnt(0)
	v_mul_f32_e32 v8, v7, v7
	v_fmac_f32_e32 v8, v6, v6
	v_div_scale_f32 v9, s[34:35], v8, v8, 1.0
	v_rcp_f32_e32 v10, v9
	v_div_scale_f32 v11, vcc, 1.0, v8, 1.0
	v_fma_f32 v12, -v9, v10, 1.0
	v_fmac_f32_e32 v10, v12, v10
	v_mul_f32_e32 v12, v11, v10
	v_fma_f32 v13, -v9, v12, v11
	v_fmac_f32_e32 v12, v13, v10
	v_fma_f32 v9, -v9, v12, v11
	v_div_fmas_f32 v9, v9, v10, v12
	v_xor_b32_e32 v11, 0x80000000, v4
	v_mov_b32_e32 v10, v5
	v_pk_mul_f32 v[10:11], v[6:7], v[10:11] op_sel:[1,0]
	v_div_fixup_f32 v8, v9, v8, 1.0
	v_pk_fma_f32 v[4:5], v[4:5], v[6:7], v[10:11] op_sel_hi:[1,0,1]
	s_nop 0
	v_pk_mul_f32 v[4:5], v[8:9], v[4:5] op_sel_hi:[0,1]
.LBB47_15:                              ;   in Loop: Header=BB47_7 Depth=2
	s_or_b64 exec, exec, s[2:3]
	v_cmp_gt_f32_e32 vcc, 0, v4
                                        ; implicit-def: $vgpr8
	s_waitcnt vmcnt(0)
	s_nop 0
	v_cndmask_b32_e64 v6, v4, -v4, vcc
	v_cmp_gt_f32_e32 vcc, 0, v5
	s_nop 1
	v_cndmask_b32_e64 v7, v5, -v5, vcc
	v_cmp_ngt_f32_e32 vcc, v6, v7
	s_and_saveexec_b64 s[2:3], vcc
	s_xor_b64 s[34:35], exec, s[2:3]
	s_cbranch_execnz .LBB47_18
; %bb.16:                               ;   in Loop: Header=BB47_7 Depth=2
	s_andn2_saveexec_b64 s[34:35], s[34:35]
	s_cbranch_execnz .LBB47_21
.LBB47_17:                              ;   in Loop: Header=BB47_7 Depth=2
	s_or_b64 exec, exec, s[34:35]
	v_cmp_class_f32_e64 s[34:35], v8, s41
	s_and_saveexec_b64 s[2:3], s[34:35]
	s_cbranch_execz .LBB47_6
	s_branch .LBB47_22
.LBB47_18:                              ;   in Loop: Header=BB47_7 Depth=2
	v_mov_b32_e32 v8, 0
	v_cmp_neq_f32_e32 vcc, 0, v5
	s_and_saveexec_b64 s[36:37], vcc
	s_cbranch_execz .LBB47_20
; %bb.19:                               ;   in Loop: Header=BB47_7 Depth=2
	v_div_scale_f32 v8, s[2:3], v7, v7, v6
	v_rcp_f32_e32 v9, v8
	v_div_scale_f32 v10, vcc, v6, v7, v6
	v_fma_f32 v11, -v8, v9, 1.0
	v_fmac_f32_e32 v9, v11, v9
	v_mul_f32_e32 v11, v10, v9
	v_fma_f32 v12, -v8, v11, v10
	v_fmac_f32_e32 v11, v12, v9
	v_fma_f32 v8, -v8, v11, v10
	v_div_fmas_f32 v8, v8, v9, v11
	v_div_fixup_f32 v6, v8, v7, v6
	v_fma_f32 v6, v6, v6, 1.0
	v_mul_f32_e32 v8, 0x4f800000, v6
	v_cmp_gt_f32_e32 vcc, s40, v6
	s_nop 1
	v_cndmask_b32_e32 v6, v6, v8, vcc
	v_sqrt_f32_e32 v8, v6
	s_nop 0
	v_add_u32_e32 v9, -1, v8
	v_fma_f32 v10, -v9, v8, v6
	v_cmp_ge_f32_e64 s[2:3], 0, v10
	v_add_u32_e32 v10, 1, v8
	s_nop 0
	v_cndmask_b32_e64 v9, v8, v9, s[2:3]
	v_fma_f32 v8, -v10, v8, v6
	v_cmp_lt_f32_e64 s[2:3], 0, v8
	s_nop 1
	v_cndmask_b32_e64 v8, v9, v10, s[2:3]
	v_mul_f32_e32 v9, 0x37800000, v8
	v_cndmask_b32_e32 v8, v8, v9, vcc
	v_cmp_class_f32_e32 vcc, v6, v18
	s_nop 1
	v_cndmask_b32_e32 v6, v8, v6, vcc
	v_mul_f32_e32 v8, v7, v6
.LBB47_20:                              ;   in Loop: Header=BB47_7 Depth=2
	s_or_b64 exec, exec, s[36:37]
                                        ; implicit-def: $vgpr6
                                        ; implicit-def: $vgpr7
	s_andn2_saveexec_b64 s[34:35], s[34:35]
	s_cbranch_execz .LBB47_17
.LBB47_21:                              ;   in Loop: Header=BB47_7 Depth=2
	v_div_scale_f32 v8, s[2:3], v6, v6, v7
	v_rcp_f32_e32 v9, v8
	v_div_scale_f32 v10, vcc, v7, v6, v7
	v_fma_f32 v11, -v8, v9, 1.0
	v_fmac_f32_e32 v9, v11, v9
	v_mul_f32_e32 v11, v10, v9
	v_fma_f32 v12, -v8, v11, v10
	v_fmac_f32_e32 v11, v12, v9
	v_fma_f32 v8, -v8, v11, v10
	v_div_fmas_f32 v8, v8, v9, v11
	v_div_fixup_f32 v7, v8, v6, v7
	v_fma_f32 v7, v7, v7, 1.0
	v_mul_f32_e32 v8, 0x4f800000, v7
	v_cmp_gt_f32_e32 vcc, s40, v7
	s_nop 1
	v_cndmask_b32_e32 v7, v7, v8, vcc
	v_sqrt_f32_e32 v8, v7
	s_nop 0
	v_add_u32_e32 v9, -1, v8
	v_fma_f32 v10, -v9, v8, v7
	v_cmp_ge_f32_e64 s[2:3], 0, v10
	v_add_u32_e32 v10, 1, v8
	s_nop 0
	v_cndmask_b32_e64 v9, v8, v9, s[2:3]
	v_fma_f32 v8, -v10, v8, v7
	v_cmp_lt_f32_e64 s[2:3], 0, v8
	s_nop 1
	v_cndmask_b32_e64 v8, v9, v10, s[2:3]
	v_mul_f32_e32 v9, 0x37800000, v8
	v_cndmask_b32_e32 v8, v8, v9, vcc
	v_cmp_class_f32_e32 vcc, v7, v18
	s_nop 1
	v_cndmask_b32_e32 v7, v8, v7, vcc
	v_mul_f32_e32 v8, v6, v7
	s_or_b64 exec, exec, s[34:35]
	v_cmp_class_f32_e64 s[34:35], v8, s41
	s_and_saveexec_b64 s[2:3], s[34:35]
	s_cbranch_execz .LBB47_6
.LBB47_22:                              ;   in Loop: Header=BB47_7 Depth=2
	v_lshl_add_u64 v[6:7], v[2:3], 3, s[10:11]
	global_store_dwordx2 v[6:7], v[4:5], off
	s_branch .LBB47_6
.LBB47_23:
	s_endpgm
	.section	.rodata,"a",@progbits
	.p2align	6, 0x0
	.amdhsa_kernel _ZN9rocsparseL16kernel_calculateILi1024ELi4ELb0E21rocsparse_complex_numIfEiiEEvT4_T3_PKS4_S6_PKS3_PKT2_21rocsparse_index_base_S6_S6_S8_S6_S6_S8_S6_PS9_PNS_15floating_traitsIS9_E6data_tEPKSG_
		.amdhsa_group_segment_fixed_size 0
		.amdhsa_private_segment_fixed_size 0
		.amdhsa_kernarg_size 128
		.amdhsa_user_sgpr_count 2
		.amdhsa_user_sgpr_dispatch_ptr 0
		.amdhsa_user_sgpr_queue_ptr 0
		.amdhsa_user_sgpr_kernarg_segment_ptr 1
		.amdhsa_user_sgpr_dispatch_id 0
		.amdhsa_user_sgpr_kernarg_preload_length 0
		.amdhsa_user_sgpr_kernarg_preload_offset 0
		.amdhsa_user_sgpr_private_segment_size 0
		.amdhsa_uses_dynamic_stack 0
		.amdhsa_enable_private_segment 0
		.amdhsa_system_sgpr_workgroup_id_x 1
		.amdhsa_system_sgpr_workgroup_id_y 0
		.amdhsa_system_sgpr_workgroup_id_z 0
		.amdhsa_system_sgpr_workgroup_info 0
		.amdhsa_system_vgpr_workitem_id 0
		.amdhsa_next_free_vgpr 30
		.amdhsa_next_free_sgpr 42
		.amdhsa_accum_offset 32
		.amdhsa_reserve_vcc 1
		.amdhsa_float_round_mode_32 0
		.amdhsa_float_round_mode_16_64 0
		.amdhsa_float_denorm_mode_32 3
		.amdhsa_float_denorm_mode_16_64 3
		.amdhsa_dx10_clamp 1
		.amdhsa_ieee_mode 1
		.amdhsa_fp16_overflow 0
		.amdhsa_tg_split 0
		.amdhsa_exception_fp_ieee_invalid_op 0
		.amdhsa_exception_fp_denorm_src 0
		.amdhsa_exception_fp_ieee_div_zero 0
		.amdhsa_exception_fp_ieee_overflow 0
		.amdhsa_exception_fp_ieee_underflow 0
		.amdhsa_exception_fp_ieee_inexact 0
		.amdhsa_exception_int_div_zero 0
	.end_amdhsa_kernel
	.section	.text._ZN9rocsparseL16kernel_calculateILi1024ELi4ELb0E21rocsparse_complex_numIfEiiEEvT4_T3_PKS4_S6_PKS3_PKT2_21rocsparse_index_base_S6_S6_S8_S6_S6_S8_S6_PS9_PNS_15floating_traitsIS9_E6data_tEPKSG_,"axG",@progbits,_ZN9rocsparseL16kernel_calculateILi1024ELi4ELb0E21rocsparse_complex_numIfEiiEEvT4_T3_PKS4_S6_PKS3_PKT2_21rocsparse_index_base_S6_S6_S8_S6_S6_S8_S6_PS9_PNS_15floating_traitsIS9_E6data_tEPKSG_,comdat
.Lfunc_end47:
	.size	_ZN9rocsparseL16kernel_calculateILi1024ELi4ELb0E21rocsparse_complex_numIfEiiEEvT4_T3_PKS4_S6_PKS3_PKT2_21rocsparse_index_base_S6_S6_S8_S6_S6_S8_S6_PS9_PNS_15floating_traitsIS9_E6data_tEPKSG_, .Lfunc_end47-_ZN9rocsparseL16kernel_calculateILi1024ELi4ELb0E21rocsparse_complex_numIfEiiEEvT4_T3_PKS4_S6_PKS3_PKT2_21rocsparse_index_base_S6_S6_S8_S6_S6_S8_S6_PS9_PNS_15floating_traitsIS9_E6data_tEPKSG_
                                        ; -- End function
	.set _ZN9rocsparseL16kernel_calculateILi1024ELi4ELb0E21rocsparse_complex_numIfEiiEEvT4_T3_PKS4_S6_PKS3_PKT2_21rocsparse_index_base_S6_S6_S8_S6_S6_S8_S6_PS9_PNS_15floating_traitsIS9_E6data_tEPKSG_.num_vgpr, 30
	.set _ZN9rocsparseL16kernel_calculateILi1024ELi4ELb0E21rocsparse_complex_numIfEiiEEvT4_T3_PKS4_S6_PKS3_PKT2_21rocsparse_index_base_S6_S6_S8_S6_S6_S8_S6_PS9_PNS_15floating_traitsIS9_E6data_tEPKSG_.num_agpr, 0
	.set _ZN9rocsparseL16kernel_calculateILi1024ELi4ELb0E21rocsparse_complex_numIfEiiEEvT4_T3_PKS4_S6_PKS3_PKT2_21rocsparse_index_base_S6_S6_S8_S6_S6_S8_S6_PS9_PNS_15floating_traitsIS9_E6data_tEPKSG_.numbered_sgpr, 42
	.set _ZN9rocsparseL16kernel_calculateILi1024ELi4ELb0E21rocsparse_complex_numIfEiiEEvT4_T3_PKS4_S6_PKS3_PKT2_21rocsparse_index_base_S6_S6_S8_S6_S6_S8_S6_PS9_PNS_15floating_traitsIS9_E6data_tEPKSG_.num_named_barrier, 0
	.set _ZN9rocsparseL16kernel_calculateILi1024ELi4ELb0E21rocsparse_complex_numIfEiiEEvT4_T3_PKS4_S6_PKS3_PKT2_21rocsparse_index_base_S6_S6_S8_S6_S6_S8_S6_PS9_PNS_15floating_traitsIS9_E6data_tEPKSG_.private_seg_size, 0
	.set _ZN9rocsparseL16kernel_calculateILi1024ELi4ELb0E21rocsparse_complex_numIfEiiEEvT4_T3_PKS4_S6_PKS3_PKT2_21rocsparse_index_base_S6_S6_S8_S6_S6_S8_S6_PS9_PNS_15floating_traitsIS9_E6data_tEPKSG_.uses_vcc, 1
	.set _ZN9rocsparseL16kernel_calculateILi1024ELi4ELb0E21rocsparse_complex_numIfEiiEEvT4_T3_PKS4_S6_PKS3_PKT2_21rocsparse_index_base_S6_S6_S8_S6_S6_S8_S6_PS9_PNS_15floating_traitsIS9_E6data_tEPKSG_.uses_flat_scratch, 0
	.set _ZN9rocsparseL16kernel_calculateILi1024ELi4ELb0E21rocsparse_complex_numIfEiiEEvT4_T3_PKS4_S6_PKS3_PKT2_21rocsparse_index_base_S6_S6_S8_S6_S6_S8_S6_PS9_PNS_15floating_traitsIS9_E6data_tEPKSG_.has_dyn_sized_stack, 0
	.set _ZN9rocsparseL16kernel_calculateILi1024ELi4ELb0E21rocsparse_complex_numIfEiiEEvT4_T3_PKS4_S6_PKS3_PKT2_21rocsparse_index_base_S6_S6_S8_S6_S6_S8_S6_PS9_PNS_15floating_traitsIS9_E6data_tEPKSG_.has_recursion, 0
	.set _ZN9rocsparseL16kernel_calculateILi1024ELi4ELb0E21rocsparse_complex_numIfEiiEEvT4_T3_PKS4_S6_PKS3_PKT2_21rocsparse_index_base_S6_S6_S8_S6_S6_S8_S6_PS9_PNS_15floating_traitsIS9_E6data_tEPKSG_.has_indirect_call, 0
	.section	.AMDGPU.csdata,"",@progbits
; Kernel info:
; codeLenInByte = 1424
; TotalNumSgprs: 48
; NumVgprs: 30
; NumAgprs: 0
; TotalNumVgprs: 30
; ScratchSize: 0
; MemoryBound: 0
; FloatMode: 240
; IeeeMode: 1
; LDSByteSize: 0 bytes/workgroup (compile time only)
; SGPRBlocks: 5
; VGPRBlocks: 3
; NumSGPRsForWavesPerEU: 48
; NumVGPRsForWavesPerEU: 30
; AccumOffset: 32
; Occupancy: 8
; WaveLimiterHint : 1
; COMPUTE_PGM_RSRC2:SCRATCH_EN: 0
; COMPUTE_PGM_RSRC2:USER_SGPR: 2
; COMPUTE_PGM_RSRC2:TRAP_HANDLER: 0
; COMPUTE_PGM_RSRC2:TGID_X_EN: 1
; COMPUTE_PGM_RSRC2:TGID_Y_EN: 0
; COMPUTE_PGM_RSRC2:TGID_Z_EN: 0
; COMPUTE_PGM_RSRC2:TIDIG_COMP_CNT: 0
; COMPUTE_PGM_RSRC3_GFX90A:ACCUM_OFFSET: 7
; COMPUTE_PGM_RSRC3_GFX90A:TG_SPLIT: 0
	.section	.text._ZN9rocsparseL16kernel_calculateILi1024ELi8ELb0E21rocsparse_complex_numIfEiiEEvT4_T3_PKS4_S6_PKS3_PKT2_21rocsparse_index_base_S6_S6_S8_S6_S6_S8_S6_PS9_PNS_15floating_traitsIS9_E6data_tEPKSG_,"axG",@progbits,_ZN9rocsparseL16kernel_calculateILi1024ELi8ELb0E21rocsparse_complex_numIfEiiEEvT4_T3_PKS4_S6_PKS3_PKT2_21rocsparse_index_base_S6_S6_S8_S6_S6_S8_S6_PS9_PNS_15floating_traitsIS9_E6data_tEPKSG_,comdat
	.globl	_ZN9rocsparseL16kernel_calculateILi1024ELi8ELb0E21rocsparse_complex_numIfEiiEEvT4_T3_PKS4_S6_PKS3_PKT2_21rocsparse_index_base_S6_S6_S8_S6_S6_S8_S6_PS9_PNS_15floating_traitsIS9_E6data_tEPKSG_ ; -- Begin function _ZN9rocsparseL16kernel_calculateILi1024ELi8ELb0E21rocsparse_complex_numIfEiiEEvT4_T3_PKS4_S6_PKS3_PKT2_21rocsparse_index_base_S6_S6_S8_S6_S6_S8_S6_PS9_PNS_15floating_traitsIS9_E6data_tEPKSG_
	.p2align	8
	.type	_ZN9rocsparseL16kernel_calculateILi1024ELi8ELb0E21rocsparse_complex_numIfEiiEEvT4_T3_PKS4_S6_PKS3_PKT2_21rocsparse_index_base_S6_S6_S8_S6_S6_S8_S6_PS9_PNS_15floating_traitsIS9_E6data_tEPKSG_,@function
_ZN9rocsparseL16kernel_calculateILi1024ELi8ELb0E21rocsparse_complex_numIfEiiEEvT4_T3_PKS4_S6_PKS3_PKT2_21rocsparse_index_base_S6_S6_S8_S6_S6_S8_S6_PS9_PNS_15floating_traitsIS9_E6data_tEPKSG_: ; @_ZN9rocsparseL16kernel_calculateILi1024ELi8ELb0E21rocsparse_complex_numIfEiiEEvT4_T3_PKS4_S6_PKS3_PKT2_21rocsparse_index_base_S6_S6_S8_S6_S6_S8_S6_PS9_PNS_15floating_traitsIS9_E6data_tEPKSG_
; %bb.0:
	s_load_dword s33, s[0:1], 0x0
	v_lshrrev_b32_e32 v1, 3, v0
	v_lshl_or_b32 v16, s2, 10, v1
	s_waitcnt lgkmcnt(0)
	v_cmp_gt_i32_e32 vcc, s33, v16
	s_and_saveexec_b64 s[2:3], vcc
	s_cbranch_execz .LBB48_23
; %bb.1:
	s_load_dword s38, s[0:1], 0x28
	s_load_dwordx8 s[4:11], s[0:1], 0x50
	s_load_dwordx8 s[12:19], s[0:1], 0x30
	;; [unrolled: 1-line block ×3, first 2 shown]
	v_and_b32_e32 v0, 7, v0
	s_waitcnt lgkmcnt(0)
	v_subrev_u32_e32 v17, s38, v0
	s_mov_b32 s39, 0
	s_mov_b32 s40, 0xf800000
	v_mov_b32_e32 v18, 0x260
	s_movk_i32 s41, 0x1f8
	s_branch .LBB48_3
.LBB48_2:                               ;   in Loop: Header=BB48_3 Depth=1
	s_or_b64 exec, exec, s[28:29]
	s_add_i32 s39, s39, 1
	s_cmp_lg_u32 s39, 8
	s_cbranch_scc0 .LBB48_23
.LBB48_3:                               ; =>This Loop Header: Depth=1
                                        ;     Child Loop BB48_7 Depth 2
                                        ;       Child Loop BB48_10 Depth 3
	v_lshl_add_u32 v0, s39, 7, v16
	v_cmp_gt_i32_e32 vcc, s33, v0
	s_and_saveexec_b64 s[28:29], vcc
	s_cbranch_execz .LBB48_2
; %bb.4:                                ;   in Loop: Header=BB48_3 Depth=1
	v_ashrrev_i32_e32 v1, 31, v0
	v_lshlrev_b64 v[4:5], 2, v[0:1]
	v_lshl_add_u64 v[2:3], s[22:23], 0, v[4:5]
	global_load_dword v1, v[2:3], off
	v_lshl_add_u64 v[2:3], s[20:21], 0, v[4:5]
	global_load_dword v2, v[2:3], off
	s_waitcnt vmcnt(1)
	v_subrev_u32_e32 v1, s38, v1
	s_waitcnt vmcnt(0)
	v_add_u32_e32 v2, v17, v2
	v_cmp_lt_i32_e32 vcc, v2, v1
	s_and_b64 exec, exec, vcc
	s_cbranch_execz .LBB48_2
; %bb.5:                                ;   in Loop: Header=BB48_3 Depth=1
	v_lshl_add_u64 v[6:7], s[14:15], 0, v[4:5]
	v_lshl_add_u64 v[4:5], s[12:13], 0, v[4:5]
	global_load_dword v3, v[6:7], off
	s_mov_b64 s[30:31], 0
	global_load_dword v4, v[4:5], off
	s_waitcnt vmcnt(1)
	v_subrev_u32_e32 v19, s38, v3
	s_waitcnt vmcnt(0)
	v_cmp_lt_i32_e64 s[0:1], v4, v3
	v_subrev_u32_e32 v20, s38, v4
	s_branch .LBB48_7
.LBB48_6:                               ;   in Loop: Header=BB48_7 Depth=2
	s_or_b64 exec, exec, s[2:3]
	v_add_u32_e32 v2, 8, v2
	v_cmp_ge_i32_e32 vcc, v2, v1
	s_or_b64 s[30:31], vcc, s[30:31]
	s_andn2_b64 exec, exec, s[30:31]
	s_cbranch_execz .LBB48_2
.LBB48_7:                               ;   Parent Loop BB48_3 Depth=1
                                        ; =>  This Loop Header: Depth=2
                                        ;       Child Loop BB48_10 Depth 3
	v_ashrrev_i32_e32 v3, 31, v2
	v_lshl_add_u64 v[4:5], v[2:3], 2, s[24:25]
	global_load_dword v4, v[4:5], off
	s_waitcnt vmcnt(0)
	v_subrev_u32_e32 v8, s38, v4
	v_ashrrev_i32_e32 v9, 31, v8
	v_lshlrev_b64 v[6:7], 2, v[8:9]
	v_lshl_add_u64 v[4:5], s[14:15], 0, v[6:7]
	global_load_dword v13, v[4:5], off
	v_lshl_add_u64 v[10:11], s[4:5], 0, v[6:7]
	v_lshl_add_u64 v[6:7], s[18:19], 0, v[6:7]
	global_load_dword v12, v[6:7], off
	global_load_dword v9, v[10:11], off
	v_lshl_add_u64 v[4:5], v[2:3], 3, s[26:27]
	global_load_dwordx2 v[4:5], v[4:5], off
	v_mov_b32_e32 v11, 0
	v_mov_b32_e32 v10, v11
	s_waitcnt vmcnt(3)
	v_subrev_u32_e32 v6, s38, v13
	v_ashrrev_i32_e32 v7, 31, v6
	v_lshl_add_u64 v[6:7], v[6:7], 3, s[10:11]
	global_load_dwordx2 v[6:7], v[6:7], off
	s_waitcnt vmcnt(2)
	v_cmp_lt_i32_e32 vcc, v12, v9
	s_and_b64 s[2:3], s[0:1], vcc
	s_and_saveexec_b64 s[34:35], s[2:3]
	s_cbranch_execz .LBB48_13
; %bb.8:                                ;   in Loop: Header=BB48_7 Depth=2
	v_mov_b32_e32 v10, 0
	v_subrev_u32_e32 v9, s38, v9
	v_subrev_u32_e32 v12, s38, v12
	s_mov_b64 s[36:37], 0
	v_mov_b32_e32 v14, v20
	v_mov_b32_e32 v11, v10
	s_branch .LBB48_10
.LBB48_9:                               ;   in Loop: Header=BB48_10 Depth=3
	s_or_b64 exec, exec, s[2:3]
	v_cmp_le_i32_e32 vcc, v21, v22
	s_nop 1
	v_addc_co_u32_e32 v14, vcc, 0, v14, vcc
	v_cmp_ge_i32_e32 vcc, v21, v22
	s_nop 1
	v_addc_co_u32_e32 v12, vcc, 0, v12, vcc
	v_cmp_ge_i32_e32 vcc, v14, v19
	v_cmp_ge_i32_e64 s[2:3], v12, v9
	s_or_b64 s[2:3], vcc, s[2:3]
	s_and_b64 s[2:3], exec, s[2:3]
	s_or_b64 s[36:37], s[2:3], s[36:37]
	s_andn2_b64 exec, exec, s[36:37]
	s_cbranch_execz .LBB48_12
.LBB48_10:                              ;   Parent Loop BB48_3 Depth=1
                                        ;     Parent Loop BB48_7 Depth=2
                                        ; =>    This Inner Loop Header: Depth=3
	v_ashrrev_i32_e32 v15, 31, v14
	v_lshl_add_u64 v[22:23], v[14:15], 2, s[16:17]
	v_ashrrev_i32_e32 v13, 31, v12
	global_load_dword v21, v[22:23], off
	v_lshl_add_u64 v[22:23], v[12:13], 2, s[6:7]
	global_load_dword v22, v[22:23], off
	s_waitcnt vmcnt(0)
	v_cmp_eq_u32_e32 vcc, v21, v22
	s_and_saveexec_b64 s[2:3], vcc
	s_cbranch_execz .LBB48_9
; %bb.11:                               ;   in Loop: Header=BB48_10 Depth=3
	v_lshl_add_u64 v[24:25], v[12:13], 2, s[8:9]
	global_load_dword v24, v[24:25], off
	v_lshl_add_u64 v[26:27], v[14:15], 3, s[10:11]
	global_load_dwordx2 v[26:27], v[26:27], off
	s_waitcnt vmcnt(1)
	v_ashrrev_i32_e32 v25, 31, v24
	v_lshl_add_u64 v[24:25], v[24:25], 3, s[10:11]
	global_load_dwordx2 v[24:25], v[24:25], off
	s_waitcnt vmcnt(1)
	v_xor_b32_e32 v28, 0x80000000, v27
	v_mov_b32_e32 v29, v26
	s_waitcnt vmcnt(0)
	v_pk_fma_f32 v[10:11], v[26:27], v[24:25], v[10:11] op_sel_hi:[1,0,1]
	s_nop 0
	v_pk_fma_f32 v[10:11], v[28:29], v[24:25], v[10:11] op_sel:[0,1,0]
	s_branch .LBB48_9
.LBB48_12:                              ;   in Loop: Header=BB48_7 Depth=2
	s_or_b64 exec, exec, s[36:37]
.LBB48_13:                              ;   in Loop: Header=BB48_7 Depth=2
	s_or_b64 exec, exec, s[34:35]
	s_waitcnt vmcnt(1)
	v_pk_add_f32 v[4:5], v[4:5], v[10:11] neg_lo:[0,1] neg_hi:[0,1]
	v_cmp_gt_i32_e32 vcc, v0, v8
	s_and_saveexec_b64 s[2:3], vcc
	s_cbranch_execz .LBB48_15
; %bb.14:                               ;   in Loop: Header=BB48_7 Depth=2
	s_waitcnt vmcnt(0)
	v_mul_f32_e32 v8, v7, v7
	v_fmac_f32_e32 v8, v6, v6
	v_div_scale_f32 v9, s[34:35], v8, v8, 1.0
	v_rcp_f32_e32 v10, v9
	v_div_scale_f32 v11, vcc, 1.0, v8, 1.0
	v_fma_f32 v12, -v9, v10, 1.0
	v_fmac_f32_e32 v10, v12, v10
	v_mul_f32_e32 v12, v11, v10
	v_fma_f32 v13, -v9, v12, v11
	v_fmac_f32_e32 v12, v13, v10
	v_fma_f32 v9, -v9, v12, v11
	v_div_fmas_f32 v9, v9, v10, v12
	v_xor_b32_e32 v11, 0x80000000, v4
	v_mov_b32_e32 v10, v5
	v_pk_mul_f32 v[10:11], v[6:7], v[10:11] op_sel:[1,0]
	v_div_fixup_f32 v8, v9, v8, 1.0
	v_pk_fma_f32 v[4:5], v[4:5], v[6:7], v[10:11] op_sel_hi:[1,0,1]
	s_nop 0
	v_pk_mul_f32 v[4:5], v[8:9], v[4:5] op_sel_hi:[0,1]
.LBB48_15:                              ;   in Loop: Header=BB48_7 Depth=2
	s_or_b64 exec, exec, s[2:3]
	v_cmp_gt_f32_e32 vcc, 0, v4
                                        ; implicit-def: $vgpr8
	s_waitcnt vmcnt(0)
	s_nop 0
	v_cndmask_b32_e64 v6, v4, -v4, vcc
	v_cmp_gt_f32_e32 vcc, 0, v5
	s_nop 1
	v_cndmask_b32_e64 v7, v5, -v5, vcc
	v_cmp_ngt_f32_e32 vcc, v6, v7
	s_and_saveexec_b64 s[2:3], vcc
	s_xor_b64 s[34:35], exec, s[2:3]
	s_cbranch_execnz .LBB48_18
; %bb.16:                               ;   in Loop: Header=BB48_7 Depth=2
	s_andn2_saveexec_b64 s[34:35], s[34:35]
	s_cbranch_execnz .LBB48_21
.LBB48_17:                              ;   in Loop: Header=BB48_7 Depth=2
	s_or_b64 exec, exec, s[34:35]
	v_cmp_class_f32_e64 s[34:35], v8, s41
	s_and_saveexec_b64 s[2:3], s[34:35]
	s_cbranch_execz .LBB48_6
	s_branch .LBB48_22
.LBB48_18:                              ;   in Loop: Header=BB48_7 Depth=2
	v_mov_b32_e32 v8, 0
	v_cmp_neq_f32_e32 vcc, 0, v5
	s_and_saveexec_b64 s[36:37], vcc
	s_cbranch_execz .LBB48_20
; %bb.19:                               ;   in Loop: Header=BB48_7 Depth=2
	v_div_scale_f32 v8, s[2:3], v7, v7, v6
	v_rcp_f32_e32 v9, v8
	v_div_scale_f32 v10, vcc, v6, v7, v6
	v_fma_f32 v11, -v8, v9, 1.0
	v_fmac_f32_e32 v9, v11, v9
	v_mul_f32_e32 v11, v10, v9
	v_fma_f32 v12, -v8, v11, v10
	v_fmac_f32_e32 v11, v12, v9
	v_fma_f32 v8, -v8, v11, v10
	v_div_fmas_f32 v8, v8, v9, v11
	v_div_fixup_f32 v6, v8, v7, v6
	v_fma_f32 v6, v6, v6, 1.0
	v_mul_f32_e32 v8, 0x4f800000, v6
	v_cmp_gt_f32_e32 vcc, s40, v6
	s_nop 1
	v_cndmask_b32_e32 v6, v6, v8, vcc
	v_sqrt_f32_e32 v8, v6
	s_nop 0
	v_add_u32_e32 v9, -1, v8
	v_fma_f32 v10, -v9, v8, v6
	v_cmp_ge_f32_e64 s[2:3], 0, v10
	v_add_u32_e32 v10, 1, v8
	s_nop 0
	v_cndmask_b32_e64 v9, v8, v9, s[2:3]
	v_fma_f32 v8, -v10, v8, v6
	v_cmp_lt_f32_e64 s[2:3], 0, v8
	s_nop 1
	v_cndmask_b32_e64 v8, v9, v10, s[2:3]
	v_mul_f32_e32 v9, 0x37800000, v8
	v_cndmask_b32_e32 v8, v8, v9, vcc
	v_cmp_class_f32_e32 vcc, v6, v18
	s_nop 1
	v_cndmask_b32_e32 v6, v8, v6, vcc
	v_mul_f32_e32 v8, v7, v6
.LBB48_20:                              ;   in Loop: Header=BB48_7 Depth=2
	s_or_b64 exec, exec, s[36:37]
                                        ; implicit-def: $vgpr6
                                        ; implicit-def: $vgpr7
	s_andn2_saveexec_b64 s[34:35], s[34:35]
	s_cbranch_execz .LBB48_17
.LBB48_21:                              ;   in Loop: Header=BB48_7 Depth=2
	v_div_scale_f32 v8, s[2:3], v6, v6, v7
	v_rcp_f32_e32 v9, v8
	v_div_scale_f32 v10, vcc, v7, v6, v7
	v_fma_f32 v11, -v8, v9, 1.0
	v_fmac_f32_e32 v9, v11, v9
	v_mul_f32_e32 v11, v10, v9
	v_fma_f32 v12, -v8, v11, v10
	v_fmac_f32_e32 v11, v12, v9
	v_fma_f32 v8, -v8, v11, v10
	v_div_fmas_f32 v8, v8, v9, v11
	v_div_fixup_f32 v7, v8, v6, v7
	v_fma_f32 v7, v7, v7, 1.0
	v_mul_f32_e32 v8, 0x4f800000, v7
	v_cmp_gt_f32_e32 vcc, s40, v7
	s_nop 1
	v_cndmask_b32_e32 v7, v7, v8, vcc
	v_sqrt_f32_e32 v8, v7
	s_nop 0
	v_add_u32_e32 v9, -1, v8
	v_fma_f32 v10, -v9, v8, v7
	v_cmp_ge_f32_e64 s[2:3], 0, v10
	v_add_u32_e32 v10, 1, v8
	s_nop 0
	v_cndmask_b32_e64 v9, v8, v9, s[2:3]
	v_fma_f32 v8, -v10, v8, v7
	v_cmp_lt_f32_e64 s[2:3], 0, v8
	s_nop 1
	v_cndmask_b32_e64 v8, v9, v10, s[2:3]
	v_mul_f32_e32 v9, 0x37800000, v8
	v_cndmask_b32_e32 v8, v8, v9, vcc
	v_cmp_class_f32_e32 vcc, v7, v18
	s_nop 1
	v_cndmask_b32_e32 v7, v8, v7, vcc
	v_mul_f32_e32 v8, v6, v7
	s_or_b64 exec, exec, s[34:35]
	v_cmp_class_f32_e64 s[34:35], v8, s41
	s_and_saveexec_b64 s[2:3], s[34:35]
	s_cbranch_execz .LBB48_6
.LBB48_22:                              ;   in Loop: Header=BB48_7 Depth=2
	v_lshl_add_u64 v[6:7], v[2:3], 3, s[10:11]
	global_store_dwordx2 v[6:7], v[4:5], off
	s_branch .LBB48_6
.LBB48_23:
	s_endpgm
	.section	.rodata,"a",@progbits
	.p2align	6, 0x0
	.amdhsa_kernel _ZN9rocsparseL16kernel_calculateILi1024ELi8ELb0E21rocsparse_complex_numIfEiiEEvT4_T3_PKS4_S6_PKS3_PKT2_21rocsparse_index_base_S6_S6_S8_S6_S6_S8_S6_PS9_PNS_15floating_traitsIS9_E6data_tEPKSG_
		.amdhsa_group_segment_fixed_size 0
		.amdhsa_private_segment_fixed_size 0
		.amdhsa_kernarg_size 128
		.amdhsa_user_sgpr_count 2
		.amdhsa_user_sgpr_dispatch_ptr 0
		.amdhsa_user_sgpr_queue_ptr 0
		.amdhsa_user_sgpr_kernarg_segment_ptr 1
		.amdhsa_user_sgpr_dispatch_id 0
		.amdhsa_user_sgpr_kernarg_preload_length 0
		.amdhsa_user_sgpr_kernarg_preload_offset 0
		.amdhsa_user_sgpr_private_segment_size 0
		.amdhsa_uses_dynamic_stack 0
		.amdhsa_enable_private_segment 0
		.amdhsa_system_sgpr_workgroup_id_x 1
		.amdhsa_system_sgpr_workgroup_id_y 0
		.amdhsa_system_sgpr_workgroup_id_z 0
		.amdhsa_system_sgpr_workgroup_info 0
		.amdhsa_system_vgpr_workitem_id 0
		.amdhsa_next_free_vgpr 30
		.amdhsa_next_free_sgpr 42
		.amdhsa_accum_offset 32
		.amdhsa_reserve_vcc 1
		.amdhsa_float_round_mode_32 0
		.amdhsa_float_round_mode_16_64 0
		.amdhsa_float_denorm_mode_32 3
		.amdhsa_float_denorm_mode_16_64 3
		.amdhsa_dx10_clamp 1
		.amdhsa_ieee_mode 1
		.amdhsa_fp16_overflow 0
		.amdhsa_tg_split 0
		.amdhsa_exception_fp_ieee_invalid_op 0
		.amdhsa_exception_fp_denorm_src 0
		.amdhsa_exception_fp_ieee_div_zero 0
		.amdhsa_exception_fp_ieee_overflow 0
		.amdhsa_exception_fp_ieee_underflow 0
		.amdhsa_exception_fp_ieee_inexact 0
		.amdhsa_exception_int_div_zero 0
	.end_amdhsa_kernel
	.section	.text._ZN9rocsparseL16kernel_calculateILi1024ELi8ELb0E21rocsparse_complex_numIfEiiEEvT4_T3_PKS4_S6_PKS3_PKT2_21rocsparse_index_base_S6_S6_S8_S6_S6_S8_S6_PS9_PNS_15floating_traitsIS9_E6data_tEPKSG_,"axG",@progbits,_ZN9rocsparseL16kernel_calculateILi1024ELi8ELb0E21rocsparse_complex_numIfEiiEEvT4_T3_PKS4_S6_PKS3_PKT2_21rocsparse_index_base_S6_S6_S8_S6_S6_S8_S6_PS9_PNS_15floating_traitsIS9_E6data_tEPKSG_,comdat
.Lfunc_end48:
	.size	_ZN9rocsparseL16kernel_calculateILi1024ELi8ELb0E21rocsparse_complex_numIfEiiEEvT4_T3_PKS4_S6_PKS3_PKT2_21rocsparse_index_base_S6_S6_S8_S6_S6_S8_S6_PS9_PNS_15floating_traitsIS9_E6data_tEPKSG_, .Lfunc_end48-_ZN9rocsparseL16kernel_calculateILi1024ELi8ELb0E21rocsparse_complex_numIfEiiEEvT4_T3_PKS4_S6_PKS3_PKT2_21rocsparse_index_base_S6_S6_S8_S6_S6_S8_S6_PS9_PNS_15floating_traitsIS9_E6data_tEPKSG_
                                        ; -- End function
	.set _ZN9rocsparseL16kernel_calculateILi1024ELi8ELb0E21rocsparse_complex_numIfEiiEEvT4_T3_PKS4_S6_PKS3_PKT2_21rocsparse_index_base_S6_S6_S8_S6_S6_S8_S6_PS9_PNS_15floating_traitsIS9_E6data_tEPKSG_.num_vgpr, 30
	.set _ZN9rocsparseL16kernel_calculateILi1024ELi8ELb0E21rocsparse_complex_numIfEiiEEvT4_T3_PKS4_S6_PKS3_PKT2_21rocsparse_index_base_S6_S6_S8_S6_S6_S8_S6_PS9_PNS_15floating_traitsIS9_E6data_tEPKSG_.num_agpr, 0
	.set _ZN9rocsparseL16kernel_calculateILi1024ELi8ELb0E21rocsparse_complex_numIfEiiEEvT4_T3_PKS4_S6_PKS3_PKT2_21rocsparse_index_base_S6_S6_S8_S6_S6_S8_S6_PS9_PNS_15floating_traitsIS9_E6data_tEPKSG_.numbered_sgpr, 42
	.set _ZN9rocsparseL16kernel_calculateILi1024ELi8ELb0E21rocsparse_complex_numIfEiiEEvT4_T3_PKS4_S6_PKS3_PKT2_21rocsparse_index_base_S6_S6_S8_S6_S6_S8_S6_PS9_PNS_15floating_traitsIS9_E6data_tEPKSG_.num_named_barrier, 0
	.set _ZN9rocsparseL16kernel_calculateILi1024ELi8ELb0E21rocsparse_complex_numIfEiiEEvT4_T3_PKS4_S6_PKS3_PKT2_21rocsparse_index_base_S6_S6_S8_S6_S6_S8_S6_PS9_PNS_15floating_traitsIS9_E6data_tEPKSG_.private_seg_size, 0
	.set _ZN9rocsparseL16kernel_calculateILi1024ELi8ELb0E21rocsparse_complex_numIfEiiEEvT4_T3_PKS4_S6_PKS3_PKT2_21rocsparse_index_base_S6_S6_S8_S6_S6_S8_S6_PS9_PNS_15floating_traitsIS9_E6data_tEPKSG_.uses_vcc, 1
	.set _ZN9rocsparseL16kernel_calculateILi1024ELi8ELb0E21rocsparse_complex_numIfEiiEEvT4_T3_PKS4_S6_PKS3_PKT2_21rocsparse_index_base_S6_S6_S8_S6_S6_S8_S6_PS9_PNS_15floating_traitsIS9_E6data_tEPKSG_.uses_flat_scratch, 0
	.set _ZN9rocsparseL16kernel_calculateILi1024ELi8ELb0E21rocsparse_complex_numIfEiiEEvT4_T3_PKS4_S6_PKS3_PKT2_21rocsparse_index_base_S6_S6_S8_S6_S6_S8_S6_PS9_PNS_15floating_traitsIS9_E6data_tEPKSG_.has_dyn_sized_stack, 0
	.set _ZN9rocsparseL16kernel_calculateILi1024ELi8ELb0E21rocsparse_complex_numIfEiiEEvT4_T3_PKS4_S6_PKS3_PKT2_21rocsparse_index_base_S6_S6_S8_S6_S6_S8_S6_PS9_PNS_15floating_traitsIS9_E6data_tEPKSG_.has_recursion, 0
	.set _ZN9rocsparseL16kernel_calculateILi1024ELi8ELb0E21rocsparse_complex_numIfEiiEEvT4_T3_PKS4_S6_PKS3_PKT2_21rocsparse_index_base_S6_S6_S8_S6_S6_S8_S6_PS9_PNS_15floating_traitsIS9_E6data_tEPKSG_.has_indirect_call, 0
	.section	.AMDGPU.csdata,"",@progbits
; Kernel info:
; codeLenInByte = 1424
; TotalNumSgprs: 48
; NumVgprs: 30
; NumAgprs: 0
; TotalNumVgprs: 30
; ScratchSize: 0
; MemoryBound: 0
; FloatMode: 240
; IeeeMode: 1
; LDSByteSize: 0 bytes/workgroup (compile time only)
; SGPRBlocks: 5
; VGPRBlocks: 3
; NumSGPRsForWavesPerEU: 48
; NumVGPRsForWavesPerEU: 30
; AccumOffset: 32
; Occupancy: 8
; WaveLimiterHint : 1
; COMPUTE_PGM_RSRC2:SCRATCH_EN: 0
; COMPUTE_PGM_RSRC2:USER_SGPR: 2
; COMPUTE_PGM_RSRC2:TRAP_HANDLER: 0
; COMPUTE_PGM_RSRC2:TGID_X_EN: 1
; COMPUTE_PGM_RSRC2:TGID_Y_EN: 0
; COMPUTE_PGM_RSRC2:TGID_Z_EN: 0
; COMPUTE_PGM_RSRC2:TIDIG_COMP_CNT: 0
; COMPUTE_PGM_RSRC3_GFX90A:ACCUM_OFFSET: 7
; COMPUTE_PGM_RSRC3_GFX90A:TG_SPLIT: 0
	.section	.text._ZN9rocsparseL16kernel_calculateILi1024ELi16ELb0E21rocsparse_complex_numIfEiiEEvT4_T3_PKS4_S6_PKS3_PKT2_21rocsparse_index_base_S6_S6_S8_S6_S6_S8_S6_PS9_PNS_15floating_traitsIS9_E6data_tEPKSG_,"axG",@progbits,_ZN9rocsparseL16kernel_calculateILi1024ELi16ELb0E21rocsparse_complex_numIfEiiEEvT4_T3_PKS4_S6_PKS3_PKT2_21rocsparse_index_base_S6_S6_S8_S6_S6_S8_S6_PS9_PNS_15floating_traitsIS9_E6data_tEPKSG_,comdat
	.globl	_ZN9rocsparseL16kernel_calculateILi1024ELi16ELb0E21rocsparse_complex_numIfEiiEEvT4_T3_PKS4_S6_PKS3_PKT2_21rocsparse_index_base_S6_S6_S8_S6_S6_S8_S6_PS9_PNS_15floating_traitsIS9_E6data_tEPKSG_ ; -- Begin function _ZN9rocsparseL16kernel_calculateILi1024ELi16ELb0E21rocsparse_complex_numIfEiiEEvT4_T3_PKS4_S6_PKS3_PKT2_21rocsparse_index_base_S6_S6_S8_S6_S6_S8_S6_PS9_PNS_15floating_traitsIS9_E6data_tEPKSG_
	.p2align	8
	.type	_ZN9rocsparseL16kernel_calculateILi1024ELi16ELb0E21rocsparse_complex_numIfEiiEEvT4_T3_PKS4_S6_PKS3_PKT2_21rocsparse_index_base_S6_S6_S8_S6_S6_S8_S6_PS9_PNS_15floating_traitsIS9_E6data_tEPKSG_,@function
_ZN9rocsparseL16kernel_calculateILi1024ELi16ELb0E21rocsparse_complex_numIfEiiEEvT4_T3_PKS4_S6_PKS3_PKT2_21rocsparse_index_base_S6_S6_S8_S6_S6_S8_S6_PS9_PNS_15floating_traitsIS9_E6data_tEPKSG_: ; @_ZN9rocsparseL16kernel_calculateILi1024ELi16ELb0E21rocsparse_complex_numIfEiiEEvT4_T3_PKS4_S6_PKS3_PKT2_21rocsparse_index_base_S6_S6_S8_S6_S6_S8_S6_PS9_PNS_15floating_traitsIS9_E6data_tEPKSG_
; %bb.0:
	s_load_dword s33, s[0:1], 0x0
	v_lshrrev_b32_e32 v1, 4, v0
	v_lshl_or_b32 v16, s2, 10, v1
	s_waitcnt lgkmcnt(0)
	v_cmp_gt_i32_e32 vcc, s33, v16
	s_and_saveexec_b64 s[2:3], vcc
	s_cbranch_execz .LBB49_23
; %bb.1:
	s_load_dword s38, s[0:1], 0x28
	s_load_dwordx8 s[4:11], s[0:1], 0x50
	s_load_dwordx8 s[12:19], s[0:1], 0x30
	;; [unrolled: 1-line block ×3, first 2 shown]
	v_and_b32_e32 v0, 15, v0
	s_waitcnt lgkmcnt(0)
	v_subrev_u32_e32 v17, s38, v0
	s_mov_b32 s39, 0
	s_mov_b32 s40, 0xf800000
	v_mov_b32_e32 v18, 0x260
	s_movk_i32 s41, 0x1f8
	s_branch .LBB49_3
.LBB49_2:                               ;   in Loop: Header=BB49_3 Depth=1
	s_or_b64 exec, exec, s[28:29]
	s_add_i32 s39, s39, 1
	s_cmp_lg_u32 s39, 16
	s_cbranch_scc0 .LBB49_23
.LBB49_3:                               ; =>This Loop Header: Depth=1
                                        ;     Child Loop BB49_7 Depth 2
                                        ;       Child Loop BB49_10 Depth 3
	v_lshl_add_u32 v0, s39, 6, v16
	v_cmp_gt_i32_e32 vcc, s33, v0
	s_and_saveexec_b64 s[28:29], vcc
	s_cbranch_execz .LBB49_2
; %bb.4:                                ;   in Loop: Header=BB49_3 Depth=1
	v_ashrrev_i32_e32 v1, 31, v0
	v_lshlrev_b64 v[4:5], 2, v[0:1]
	v_lshl_add_u64 v[2:3], s[22:23], 0, v[4:5]
	global_load_dword v1, v[2:3], off
	v_lshl_add_u64 v[2:3], s[20:21], 0, v[4:5]
	global_load_dword v2, v[2:3], off
	s_waitcnt vmcnt(1)
	v_subrev_u32_e32 v1, s38, v1
	s_waitcnt vmcnt(0)
	v_add_u32_e32 v2, v17, v2
	v_cmp_lt_i32_e32 vcc, v2, v1
	s_and_b64 exec, exec, vcc
	s_cbranch_execz .LBB49_2
; %bb.5:                                ;   in Loop: Header=BB49_3 Depth=1
	v_lshl_add_u64 v[6:7], s[14:15], 0, v[4:5]
	v_lshl_add_u64 v[4:5], s[12:13], 0, v[4:5]
	global_load_dword v3, v[6:7], off
	s_mov_b64 s[30:31], 0
	global_load_dword v4, v[4:5], off
	s_waitcnt vmcnt(1)
	v_subrev_u32_e32 v19, s38, v3
	s_waitcnt vmcnt(0)
	v_cmp_lt_i32_e64 s[0:1], v4, v3
	v_subrev_u32_e32 v20, s38, v4
	s_branch .LBB49_7
.LBB49_6:                               ;   in Loop: Header=BB49_7 Depth=2
	s_or_b64 exec, exec, s[2:3]
	v_add_u32_e32 v2, 16, v2
	v_cmp_ge_i32_e32 vcc, v2, v1
	s_or_b64 s[30:31], vcc, s[30:31]
	s_andn2_b64 exec, exec, s[30:31]
	s_cbranch_execz .LBB49_2
.LBB49_7:                               ;   Parent Loop BB49_3 Depth=1
                                        ; =>  This Loop Header: Depth=2
                                        ;       Child Loop BB49_10 Depth 3
	v_ashrrev_i32_e32 v3, 31, v2
	v_lshl_add_u64 v[4:5], v[2:3], 2, s[24:25]
	global_load_dword v4, v[4:5], off
	s_waitcnt vmcnt(0)
	v_subrev_u32_e32 v8, s38, v4
	v_ashrrev_i32_e32 v9, 31, v8
	v_lshlrev_b64 v[6:7], 2, v[8:9]
	v_lshl_add_u64 v[4:5], s[14:15], 0, v[6:7]
	global_load_dword v13, v[4:5], off
	v_lshl_add_u64 v[10:11], s[4:5], 0, v[6:7]
	v_lshl_add_u64 v[6:7], s[18:19], 0, v[6:7]
	global_load_dword v12, v[6:7], off
	global_load_dword v9, v[10:11], off
	v_lshl_add_u64 v[4:5], v[2:3], 3, s[26:27]
	global_load_dwordx2 v[4:5], v[4:5], off
	v_mov_b32_e32 v11, 0
	v_mov_b32_e32 v10, v11
	s_waitcnt vmcnt(3)
	v_subrev_u32_e32 v6, s38, v13
	v_ashrrev_i32_e32 v7, 31, v6
	v_lshl_add_u64 v[6:7], v[6:7], 3, s[10:11]
	global_load_dwordx2 v[6:7], v[6:7], off
	s_waitcnt vmcnt(2)
	v_cmp_lt_i32_e32 vcc, v12, v9
	s_and_b64 s[2:3], s[0:1], vcc
	s_and_saveexec_b64 s[34:35], s[2:3]
	s_cbranch_execz .LBB49_13
; %bb.8:                                ;   in Loop: Header=BB49_7 Depth=2
	v_mov_b32_e32 v10, 0
	v_subrev_u32_e32 v9, s38, v9
	v_subrev_u32_e32 v12, s38, v12
	s_mov_b64 s[36:37], 0
	v_mov_b32_e32 v14, v20
	v_mov_b32_e32 v11, v10
	s_branch .LBB49_10
.LBB49_9:                               ;   in Loop: Header=BB49_10 Depth=3
	s_or_b64 exec, exec, s[2:3]
	v_cmp_le_i32_e32 vcc, v21, v22
	s_nop 1
	v_addc_co_u32_e32 v14, vcc, 0, v14, vcc
	v_cmp_ge_i32_e32 vcc, v21, v22
	s_nop 1
	v_addc_co_u32_e32 v12, vcc, 0, v12, vcc
	v_cmp_ge_i32_e32 vcc, v14, v19
	v_cmp_ge_i32_e64 s[2:3], v12, v9
	s_or_b64 s[2:3], vcc, s[2:3]
	s_and_b64 s[2:3], exec, s[2:3]
	s_or_b64 s[36:37], s[2:3], s[36:37]
	s_andn2_b64 exec, exec, s[36:37]
	s_cbranch_execz .LBB49_12
.LBB49_10:                              ;   Parent Loop BB49_3 Depth=1
                                        ;     Parent Loop BB49_7 Depth=2
                                        ; =>    This Inner Loop Header: Depth=3
	v_ashrrev_i32_e32 v15, 31, v14
	v_lshl_add_u64 v[22:23], v[14:15], 2, s[16:17]
	v_ashrrev_i32_e32 v13, 31, v12
	global_load_dword v21, v[22:23], off
	v_lshl_add_u64 v[22:23], v[12:13], 2, s[6:7]
	global_load_dword v22, v[22:23], off
	s_waitcnt vmcnt(0)
	v_cmp_eq_u32_e32 vcc, v21, v22
	s_and_saveexec_b64 s[2:3], vcc
	s_cbranch_execz .LBB49_9
; %bb.11:                               ;   in Loop: Header=BB49_10 Depth=3
	v_lshl_add_u64 v[24:25], v[12:13], 2, s[8:9]
	global_load_dword v24, v[24:25], off
	v_lshl_add_u64 v[26:27], v[14:15], 3, s[10:11]
	global_load_dwordx2 v[26:27], v[26:27], off
	s_waitcnt vmcnt(1)
	v_ashrrev_i32_e32 v25, 31, v24
	v_lshl_add_u64 v[24:25], v[24:25], 3, s[10:11]
	global_load_dwordx2 v[24:25], v[24:25], off
	s_waitcnt vmcnt(1)
	v_xor_b32_e32 v28, 0x80000000, v27
	v_mov_b32_e32 v29, v26
	s_waitcnt vmcnt(0)
	v_pk_fma_f32 v[10:11], v[26:27], v[24:25], v[10:11] op_sel_hi:[1,0,1]
	s_nop 0
	v_pk_fma_f32 v[10:11], v[28:29], v[24:25], v[10:11] op_sel:[0,1,0]
	s_branch .LBB49_9
.LBB49_12:                              ;   in Loop: Header=BB49_7 Depth=2
	s_or_b64 exec, exec, s[36:37]
.LBB49_13:                              ;   in Loop: Header=BB49_7 Depth=2
	s_or_b64 exec, exec, s[34:35]
	s_waitcnt vmcnt(1)
	v_pk_add_f32 v[4:5], v[4:5], v[10:11] neg_lo:[0,1] neg_hi:[0,1]
	v_cmp_gt_i32_e32 vcc, v0, v8
	s_and_saveexec_b64 s[2:3], vcc
	s_cbranch_execz .LBB49_15
; %bb.14:                               ;   in Loop: Header=BB49_7 Depth=2
	s_waitcnt vmcnt(0)
	v_mul_f32_e32 v8, v7, v7
	v_fmac_f32_e32 v8, v6, v6
	v_div_scale_f32 v9, s[34:35], v8, v8, 1.0
	v_rcp_f32_e32 v10, v9
	v_div_scale_f32 v11, vcc, 1.0, v8, 1.0
	v_fma_f32 v12, -v9, v10, 1.0
	v_fmac_f32_e32 v10, v12, v10
	v_mul_f32_e32 v12, v11, v10
	v_fma_f32 v13, -v9, v12, v11
	v_fmac_f32_e32 v12, v13, v10
	v_fma_f32 v9, -v9, v12, v11
	v_div_fmas_f32 v9, v9, v10, v12
	v_xor_b32_e32 v11, 0x80000000, v4
	v_mov_b32_e32 v10, v5
	v_pk_mul_f32 v[10:11], v[6:7], v[10:11] op_sel:[1,0]
	v_div_fixup_f32 v8, v9, v8, 1.0
	v_pk_fma_f32 v[4:5], v[4:5], v[6:7], v[10:11] op_sel_hi:[1,0,1]
	s_nop 0
	v_pk_mul_f32 v[4:5], v[8:9], v[4:5] op_sel_hi:[0,1]
.LBB49_15:                              ;   in Loop: Header=BB49_7 Depth=2
	s_or_b64 exec, exec, s[2:3]
	v_cmp_gt_f32_e32 vcc, 0, v4
                                        ; implicit-def: $vgpr8
	s_waitcnt vmcnt(0)
	s_nop 0
	v_cndmask_b32_e64 v6, v4, -v4, vcc
	v_cmp_gt_f32_e32 vcc, 0, v5
	s_nop 1
	v_cndmask_b32_e64 v7, v5, -v5, vcc
	v_cmp_ngt_f32_e32 vcc, v6, v7
	s_and_saveexec_b64 s[2:3], vcc
	s_xor_b64 s[34:35], exec, s[2:3]
	s_cbranch_execnz .LBB49_18
; %bb.16:                               ;   in Loop: Header=BB49_7 Depth=2
	s_andn2_saveexec_b64 s[34:35], s[34:35]
	s_cbranch_execnz .LBB49_21
.LBB49_17:                              ;   in Loop: Header=BB49_7 Depth=2
	s_or_b64 exec, exec, s[34:35]
	v_cmp_class_f32_e64 s[34:35], v8, s41
	s_and_saveexec_b64 s[2:3], s[34:35]
	s_cbranch_execz .LBB49_6
	s_branch .LBB49_22
.LBB49_18:                              ;   in Loop: Header=BB49_7 Depth=2
	v_mov_b32_e32 v8, 0
	v_cmp_neq_f32_e32 vcc, 0, v5
	s_and_saveexec_b64 s[36:37], vcc
	s_cbranch_execz .LBB49_20
; %bb.19:                               ;   in Loop: Header=BB49_7 Depth=2
	v_div_scale_f32 v8, s[2:3], v7, v7, v6
	v_rcp_f32_e32 v9, v8
	v_div_scale_f32 v10, vcc, v6, v7, v6
	v_fma_f32 v11, -v8, v9, 1.0
	v_fmac_f32_e32 v9, v11, v9
	v_mul_f32_e32 v11, v10, v9
	v_fma_f32 v12, -v8, v11, v10
	v_fmac_f32_e32 v11, v12, v9
	v_fma_f32 v8, -v8, v11, v10
	v_div_fmas_f32 v8, v8, v9, v11
	v_div_fixup_f32 v6, v8, v7, v6
	v_fma_f32 v6, v6, v6, 1.0
	v_mul_f32_e32 v8, 0x4f800000, v6
	v_cmp_gt_f32_e32 vcc, s40, v6
	s_nop 1
	v_cndmask_b32_e32 v6, v6, v8, vcc
	v_sqrt_f32_e32 v8, v6
	s_nop 0
	v_add_u32_e32 v9, -1, v8
	v_fma_f32 v10, -v9, v8, v6
	v_cmp_ge_f32_e64 s[2:3], 0, v10
	v_add_u32_e32 v10, 1, v8
	s_nop 0
	v_cndmask_b32_e64 v9, v8, v9, s[2:3]
	v_fma_f32 v8, -v10, v8, v6
	v_cmp_lt_f32_e64 s[2:3], 0, v8
	s_nop 1
	v_cndmask_b32_e64 v8, v9, v10, s[2:3]
	v_mul_f32_e32 v9, 0x37800000, v8
	v_cndmask_b32_e32 v8, v8, v9, vcc
	v_cmp_class_f32_e32 vcc, v6, v18
	s_nop 1
	v_cndmask_b32_e32 v6, v8, v6, vcc
	v_mul_f32_e32 v8, v7, v6
.LBB49_20:                              ;   in Loop: Header=BB49_7 Depth=2
	s_or_b64 exec, exec, s[36:37]
                                        ; implicit-def: $vgpr6
                                        ; implicit-def: $vgpr7
	s_andn2_saveexec_b64 s[34:35], s[34:35]
	s_cbranch_execz .LBB49_17
.LBB49_21:                              ;   in Loop: Header=BB49_7 Depth=2
	v_div_scale_f32 v8, s[2:3], v6, v6, v7
	v_rcp_f32_e32 v9, v8
	v_div_scale_f32 v10, vcc, v7, v6, v7
	v_fma_f32 v11, -v8, v9, 1.0
	v_fmac_f32_e32 v9, v11, v9
	v_mul_f32_e32 v11, v10, v9
	v_fma_f32 v12, -v8, v11, v10
	v_fmac_f32_e32 v11, v12, v9
	v_fma_f32 v8, -v8, v11, v10
	v_div_fmas_f32 v8, v8, v9, v11
	v_div_fixup_f32 v7, v8, v6, v7
	v_fma_f32 v7, v7, v7, 1.0
	v_mul_f32_e32 v8, 0x4f800000, v7
	v_cmp_gt_f32_e32 vcc, s40, v7
	s_nop 1
	v_cndmask_b32_e32 v7, v7, v8, vcc
	v_sqrt_f32_e32 v8, v7
	s_nop 0
	v_add_u32_e32 v9, -1, v8
	v_fma_f32 v10, -v9, v8, v7
	v_cmp_ge_f32_e64 s[2:3], 0, v10
	v_add_u32_e32 v10, 1, v8
	s_nop 0
	v_cndmask_b32_e64 v9, v8, v9, s[2:3]
	v_fma_f32 v8, -v10, v8, v7
	v_cmp_lt_f32_e64 s[2:3], 0, v8
	s_nop 1
	v_cndmask_b32_e64 v8, v9, v10, s[2:3]
	v_mul_f32_e32 v9, 0x37800000, v8
	v_cndmask_b32_e32 v8, v8, v9, vcc
	v_cmp_class_f32_e32 vcc, v7, v18
	s_nop 1
	v_cndmask_b32_e32 v7, v8, v7, vcc
	v_mul_f32_e32 v8, v6, v7
	s_or_b64 exec, exec, s[34:35]
	v_cmp_class_f32_e64 s[34:35], v8, s41
	s_and_saveexec_b64 s[2:3], s[34:35]
	s_cbranch_execz .LBB49_6
.LBB49_22:                              ;   in Loop: Header=BB49_7 Depth=2
	v_lshl_add_u64 v[6:7], v[2:3], 3, s[10:11]
	global_store_dwordx2 v[6:7], v[4:5], off
	s_branch .LBB49_6
.LBB49_23:
	s_endpgm
	.section	.rodata,"a",@progbits
	.p2align	6, 0x0
	.amdhsa_kernel _ZN9rocsparseL16kernel_calculateILi1024ELi16ELb0E21rocsparse_complex_numIfEiiEEvT4_T3_PKS4_S6_PKS3_PKT2_21rocsparse_index_base_S6_S6_S8_S6_S6_S8_S6_PS9_PNS_15floating_traitsIS9_E6data_tEPKSG_
		.amdhsa_group_segment_fixed_size 0
		.amdhsa_private_segment_fixed_size 0
		.amdhsa_kernarg_size 128
		.amdhsa_user_sgpr_count 2
		.amdhsa_user_sgpr_dispatch_ptr 0
		.amdhsa_user_sgpr_queue_ptr 0
		.amdhsa_user_sgpr_kernarg_segment_ptr 1
		.amdhsa_user_sgpr_dispatch_id 0
		.amdhsa_user_sgpr_kernarg_preload_length 0
		.amdhsa_user_sgpr_kernarg_preload_offset 0
		.amdhsa_user_sgpr_private_segment_size 0
		.amdhsa_uses_dynamic_stack 0
		.amdhsa_enable_private_segment 0
		.amdhsa_system_sgpr_workgroup_id_x 1
		.amdhsa_system_sgpr_workgroup_id_y 0
		.amdhsa_system_sgpr_workgroup_id_z 0
		.amdhsa_system_sgpr_workgroup_info 0
		.amdhsa_system_vgpr_workitem_id 0
		.amdhsa_next_free_vgpr 30
		.amdhsa_next_free_sgpr 42
		.amdhsa_accum_offset 32
		.amdhsa_reserve_vcc 1
		.amdhsa_float_round_mode_32 0
		.amdhsa_float_round_mode_16_64 0
		.amdhsa_float_denorm_mode_32 3
		.amdhsa_float_denorm_mode_16_64 3
		.amdhsa_dx10_clamp 1
		.amdhsa_ieee_mode 1
		.amdhsa_fp16_overflow 0
		.amdhsa_tg_split 0
		.amdhsa_exception_fp_ieee_invalid_op 0
		.amdhsa_exception_fp_denorm_src 0
		.amdhsa_exception_fp_ieee_div_zero 0
		.amdhsa_exception_fp_ieee_overflow 0
		.amdhsa_exception_fp_ieee_underflow 0
		.amdhsa_exception_fp_ieee_inexact 0
		.amdhsa_exception_int_div_zero 0
	.end_amdhsa_kernel
	.section	.text._ZN9rocsparseL16kernel_calculateILi1024ELi16ELb0E21rocsparse_complex_numIfEiiEEvT4_T3_PKS4_S6_PKS3_PKT2_21rocsparse_index_base_S6_S6_S8_S6_S6_S8_S6_PS9_PNS_15floating_traitsIS9_E6data_tEPKSG_,"axG",@progbits,_ZN9rocsparseL16kernel_calculateILi1024ELi16ELb0E21rocsparse_complex_numIfEiiEEvT4_T3_PKS4_S6_PKS3_PKT2_21rocsparse_index_base_S6_S6_S8_S6_S6_S8_S6_PS9_PNS_15floating_traitsIS9_E6data_tEPKSG_,comdat
.Lfunc_end49:
	.size	_ZN9rocsparseL16kernel_calculateILi1024ELi16ELb0E21rocsparse_complex_numIfEiiEEvT4_T3_PKS4_S6_PKS3_PKT2_21rocsparse_index_base_S6_S6_S8_S6_S6_S8_S6_PS9_PNS_15floating_traitsIS9_E6data_tEPKSG_, .Lfunc_end49-_ZN9rocsparseL16kernel_calculateILi1024ELi16ELb0E21rocsparse_complex_numIfEiiEEvT4_T3_PKS4_S6_PKS3_PKT2_21rocsparse_index_base_S6_S6_S8_S6_S6_S8_S6_PS9_PNS_15floating_traitsIS9_E6data_tEPKSG_
                                        ; -- End function
	.set _ZN9rocsparseL16kernel_calculateILi1024ELi16ELb0E21rocsparse_complex_numIfEiiEEvT4_T3_PKS4_S6_PKS3_PKT2_21rocsparse_index_base_S6_S6_S8_S6_S6_S8_S6_PS9_PNS_15floating_traitsIS9_E6data_tEPKSG_.num_vgpr, 30
	.set _ZN9rocsparseL16kernel_calculateILi1024ELi16ELb0E21rocsparse_complex_numIfEiiEEvT4_T3_PKS4_S6_PKS3_PKT2_21rocsparse_index_base_S6_S6_S8_S6_S6_S8_S6_PS9_PNS_15floating_traitsIS9_E6data_tEPKSG_.num_agpr, 0
	.set _ZN9rocsparseL16kernel_calculateILi1024ELi16ELb0E21rocsparse_complex_numIfEiiEEvT4_T3_PKS4_S6_PKS3_PKT2_21rocsparse_index_base_S6_S6_S8_S6_S6_S8_S6_PS9_PNS_15floating_traitsIS9_E6data_tEPKSG_.numbered_sgpr, 42
	.set _ZN9rocsparseL16kernel_calculateILi1024ELi16ELb0E21rocsparse_complex_numIfEiiEEvT4_T3_PKS4_S6_PKS3_PKT2_21rocsparse_index_base_S6_S6_S8_S6_S6_S8_S6_PS9_PNS_15floating_traitsIS9_E6data_tEPKSG_.num_named_barrier, 0
	.set _ZN9rocsparseL16kernel_calculateILi1024ELi16ELb0E21rocsparse_complex_numIfEiiEEvT4_T3_PKS4_S6_PKS3_PKT2_21rocsparse_index_base_S6_S6_S8_S6_S6_S8_S6_PS9_PNS_15floating_traitsIS9_E6data_tEPKSG_.private_seg_size, 0
	.set _ZN9rocsparseL16kernel_calculateILi1024ELi16ELb0E21rocsparse_complex_numIfEiiEEvT4_T3_PKS4_S6_PKS3_PKT2_21rocsparse_index_base_S6_S6_S8_S6_S6_S8_S6_PS9_PNS_15floating_traitsIS9_E6data_tEPKSG_.uses_vcc, 1
	.set _ZN9rocsparseL16kernel_calculateILi1024ELi16ELb0E21rocsparse_complex_numIfEiiEEvT4_T3_PKS4_S6_PKS3_PKT2_21rocsparse_index_base_S6_S6_S8_S6_S6_S8_S6_PS9_PNS_15floating_traitsIS9_E6data_tEPKSG_.uses_flat_scratch, 0
	.set _ZN9rocsparseL16kernel_calculateILi1024ELi16ELb0E21rocsparse_complex_numIfEiiEEvT4_T3_PKS4_S6_PKS3_PKT2_21rocsparse_index_base_S6_S6_S8_S6_S6_S8_S6_PS9_PNS_15floating_traitsIS9_E6data_tEPKSG_.has_dyn_sized_stack, 0
	.set _ZN9rocsparseL16kernel_calculateILi1024ELi16ELb0E21rocsparse_complex_numIfEiiEEvT4_T3_PKS4_S6_PKS3_PKT2_21rocsparse_index_base_S6_S6_S8_S6_S6_S8_S6_PS9_PNS_15floating_traitsIS9_E6data_tEPKSG_.has_recursion, 0
	.set _ZN9rocsparseL16kernel_calculateILi1024ELi16ELb0E21rocsparse_complex_numIfEiiEEvT4_T3_PKS4_S6_PKS3_PKT2_21rocsparse_index_base_S6_S6_S8_S6_S6_S8_S6_PS9_PNS_15floating_traitsIS9_E6data_tEPKSG_.has_indirect_call, 0
	.section	.AMDGPU.csdata,"",@progbits
; Kernel info:
; codeLenInByte = 1424
; TotalNumSgprs: 48
; NumVgprs: 30
; NumAgprs: 0
; TotalNumVgprs: 30
; ScratchSize: 0
; MemoryBound: 0
; FloatMode: 240
; IeeeMode: 1
; LDSByteSize: 0 bytes/workgroup (compile time only)
; SGPRBlocks: 5
; VGPRBlocks: 3
; NumSGPRsForWavesPerEU: 48
; NumVGPRsForWavesPerEU: 30
; AccumOffset: 32
; Occupancy: 8
; WaveLimiterHint : 1
; COMPUTE_PGM_RSRC2:SCRATCH_EN: 0
; COMPUTE_PGM_RSRC2:USER_SGPR: 2
; COMPUTE_PGM_RSRC2:TRAP_HANDLER: 0
; COMPUTE_PGM_RSRC2:TGID_X_EN: 1
; COMPUTE_PGM_RSRC2:TGID_Y_EN: 0
; COMPUTE_PGM_RSRC2:TGID_Z_EN: 0
; COMPUTE_PGM_RSRC2:TIDIG_COMP_CNT: 0
; COMPUTE_PGM_RSRC3_GFX90A:ACCUM_OFFSET: 7
; COMPUTE_PGM_RSRC3_GFX90A:TG_SPLIT: 0
	.section	.text._ZN9rocsparseL16kernel_calculateILi1024ELi32ELb0E21rocsparse_complex_numIfEiiEEvT4_T3_PKS4_S6_PKS3_PKT2_21rocsparse_index_base_S6_S6_S8_S6_S6_S8_S6_PS9_PNS_15floating_traitsIS9_E6data_tEPKSG_,"axG",@progbits,_ZN9rocsparseL16kernel_calculateILi1024ELi32ELb0E21rocsparse_complex_numIfEiiEEvT4_T3_PKS4_S6_PKS3_PKT2_21rocsparse_index_base_S6_S6_S8_S6_S6_S8_S6_PS9_PNS_15floating_traitsIS9_E6data_tEPKSG_,comdat
	.globl	_ZN9rocsparseL16kernel_calculateILi1024ELi32ELb0E21rocsparse_complex_numIfEiiEEvT4_T3_PKS4_S6_PKS3_PKT2_21rocsparse_index_base_S6_S6_S8_S6_S6_S8_S6_PS9_PNS_15floating_traitsIS9_E6data_tEPKSG_ ; -- Begin function _ZN9rocsparseL16kernel_calculateILi1024ELi32ELb0E21rocsparse_complex_numIfEiiEEvT4_T3_PKS4_S6_PKS3_PKT2_21rocsparse_index_base_S6_S6_S8_S6_S6_S8_S6_PS9_PNS_15floating_traitsIS9_E6data_tEPKSG_
	.p2align	8
	.type	_ZN9rocsparseL16kernel_calculateILi1024ELi32ELb0E21rocsparse_complex_numIfEiiEEvT4_T3_PKS4_S6_PKS3_PKT2_21rocsparse_index_base_S6_S6_S8_S6_S6_S8_S6_PS9_PNS_15floating_traitsIS9_E6data_tEPKSG_,@function
_ZN9rocsparseL16kernel_calculateILi1024ELi32ELb0E21rocsparse_complex_numIfEiiEEvT4_T3_PKS4_S6_PKS3_PKT2_21rocsparse_index_base_S6_S6_S8_S6_S6_S8_S6_PS9_PNS_15floating_traitsIS9_E6data_tEPKSG_: ; @_ZN9rocsparseL16kernel_calculateILi1024ELi32ELb0E21rocsparse_complex_numIfEiiEEvT4_T3_PKS4_S6_PKS3_PKT2_21rocsparse_index_base_S6_S6_S8_S6_S6_S8_S6_PS9_PNS_15floating_traitsIS9_E6data_tEPKSG_
; %bb.0:
	s_load_dword s33, s[0:1], 0x0
	v_lshrrev_b32_e32 v1, 5, v0
	v_lshl_or_b32 v16, s2, 10, v1
	s_waitcnt lgkmcnt(0)
	v_cmp_gt_i32_e32 vcc, s33, v16
	s_and_saveexec_b64 s[2:3], vcc
	s_cbranch_execz .LBB50_23
; %bb.1:
	s_load_dword s38, s[0:1], 0x28
	s_load_dwordx8 s[4:11], s[0:1], 0x50
	s_load_dwordx8 s[12:19], s[0:1], 0x30
	;; [unrolled: 1-line block ×3, first 2 shown]
	v_and_b32_e32 v0, 31, v0
	s_waitcnt lgkmcnt(0)
	v_subrev_u32_e32 v17, s38, v0
	s_mov_b32 s39, 0
	s_mov_b32 s40, 0xf800000
	v_mov_b32_e32 v18, 0x260
	s_movk_i32 s41, 0x1f8
	s_branch .LBB50_3
.LBB50_2:                               ;   in Loop: Header=BB50_3 Depth=1
	s_or_b64 exec, exec, s[28:29]
	s_add_i32 s39, s39, 1
	s_cmp_lg_u32 s39, 32
	s_cbranch_scc0 .LBB50_23
.LBB50_3:                               ; =>This Loop Header: Depth=1
                                        ;     Child Loop BB50_7 Depth 2
                                        ;       Child Loop BB50_10 Depth 3
	v_lshl_add_u32 v0, s39, 5, v16
	v_cmp_gt_i32_e32 vcc, s33, v0
	s_and_saveexec_b64 s[28:29], vcc
	s_cbranch_execz .LBB50_2
; %bb.4:                                ;   in Loop: Header=BB50_3 Depth=1
	v_ashrrev_i32_e32 v1, 31, v0
	v_lshlrev_b64 v[4:5], 2, v[0:1]
	v_lshl_add_u64 v[2:3], s[22:23], 0, v[4:5]
	global_load_dword v1, v[2:3], off
	v_lshl_add_u64 v[2:3], s[20:21], 0, v[4:5]
	global_load_dword v2, v[2:3], off
	s_waitcnt vmcnt(1)
	v_subrev_u32_e32 v1, s38, v1
	s_waitcnt vmcnt(0)
	v_add_u32_e32 v2, v17, v2
	v_cmp_lt_i32_e32 vcc, v2, v1
	s_and_b64 exec, exec, vcc
	s_cbranch_execz .LBB50_2
; %bb.5:                                ;   in Loop: Header=BB50_3 Depth=1
	v_lshl_add_u64 v[6:7], s[14:15], 0, v[4:5]
	v_lshl_add_u64 v[4:5], s[12:13], 0, v[4:5]
	global_load_dword v3, v[6:7], off
	s_mov_b64 s[30:31], 0
	global_load_dword v4, v[4:5], off
	s_waitcnt vmcnt(1)
	v_subrev_u32_e32 v19, s38, v3
	s_waitcnt vmcnt(0)
	v_cmp_lt_i32_e64 s[0:1], v4, v3
	v_subrev_u32_e32 v20, s38, v4
	s_branch .LBB50_7
.LBB50_6:                               ;   in Loop: Header=BB50_7 Depth=2
	s_or_b64 exec, exec, s[2:3]
	v_add_u32_e32 v2, 32, v2
	v_cmp_ge_i32_e32 vcc, v2, v1
	s_or_b64 s[30:31], vcc, s[30:31]
	s_andn2_b64 exec, exec, s[30:31]
	s_cbranch_execz .LBB50_2
.LBB50_7:                               ;   Parent Loop BB50_3 Depth=1
                                        ; =>  This Loop Header: Depth=2
                                        ;       Child Loop BB50_10 Depth 3
	v_ashrrev_i32_e32 v3, 31, v2
	v_lshl_add_u64 v[4:5], v[2:3], 2, s[24:25]
	global_load_dword v4, v[4:5], off
	s_waitcnt vmcnt(0)
	v_subrev_u32_e32 v8, s38, v4
	v_ashrrev_i32_e32 v9, 31, v8
	v_lshlrev_b64 v[6:7], 2, v[8:9]
	v_lshl_add_u64 v[4:5], s[14:15], 0, v[6:7]
	global_load_dword v13, v[4:5], off
	v_lshl_add_u64 v[10:11], s[4:5], 0, v[6:7]
	v_lshl_add_u64 v[6:7], s[18:19], 0, v[6:7]
	global_load_dword v12, v[6:7], off
	global_load_dword v9, v[10:11], off
	v_lshl_add_u64 v[4:5], v[2:3], 3, s[26:27]
	global_load_dwordx2 v[4:5], v[4:5], off
	v_mov_b32_e32 v11, 0
	v_mov_b32_e32 v10, v11
	s_waitcnt vmcnt(3)
	v_subrev_u32_e32 v6, s38, v13
	v_ashrrev_i32_e32 v7, 31, v6
	v_lshl_add_u64 v[6:7], v[6:7], 3, s[10:11]
	global_load_dwordx2 v[6:7], v[6:7], off
	s_waitcnt vmcnt(2)
	v_cmp_lt_i32_e32 vcc, v12, v9
	s_and_b64 s[2:3], s[0:1], vcc
	s_and_saveexec_b64 s[34:35], s[2:3]
	s_cbranch_execz .LBB50_13
; %bb.8:                                ;   in Loop: Header=BB50_7 Depth=2
	v_mov_b32_e32 v10, 0
	v_subrev_u32_e32 v9, s38, v9
	v_subrev_u32_e32 v12, s38, v12
	s_mov_b64 s[36:37], 0
	v_mov_b32_e32 v14, v20
	v_mov_b32_e32 v11, v10
	s_branch .LBB50_10
.LBB50_9:                               ;   in Loop: Header=BB50_10 Depth=3
	s_or_b64 exec, exec, s[2:3]
	v_cmp_le_i32_e32 vcc, v21, v22
	s_nop 1
	v_addc_co_u32_e32 v14, vcc, 0, v14, vcc
	v_cmp_ge_i32_e32 vcc, v21, v22
	s_nop 1
	v_addc_co_u32_e32 v12, vcc, 0, v12, vcc
	v_cmp_ge_i32_e32 vcc, v14, v19
	v_cmp_ge_i32_e64 s[2:3], v12, v9
	s_or_b64 s[2:3], vcc, s[2:3]
	s_and_b64 s[2:3], exec, s[2:3]
	s_or_b64 s[36:37], s[2:3], s[36:37]
	s_andn2_b64 exec, exec, s[36:37]
	s_cbranch_execz .LBB50_12
.LBB50_10:                              ;   Parent Loop BB50_3 Depth=1
                                        ;     Parent Loop BB50_7 Depth=2
                                        ; =>    This Inner Loop Header: Depth=3
	v_ashrrev_i32_e32 v15, 31, v14
	v_lshl_add_u64 v[22:23], v[14:15], 2, s[16:17]
	v_ashrrev_i32_e32 v13, 31, v12
	global_load_dword v21, v[22:23], off
	v_lshl_add_u64 v[22:23], v[12:13], 2, s[6:7]
	global_load_dword v22, v[22:23], off
	s_waitcnt vmcnt(0)
	v_cmp_eq_u32_e32 vcc, v21, v22
	s_and_saveexec_b64 s[2:3], vcc
	s_cbranch_execz .LBB50_9
; %bb.11:                               ;   in Loop: Header=BB50_10 Depth=3
	v_lshl_add_u64 v[24:25], v[12:13], 2, s[8:9]
	global_load_dword v24, v[24:25], off
	v_lshl_add_u64 v[26:27], v[14:15], 3, s[10:11]
	global_load_dwordx2 v[26:27], v[26:27], off
	s_waitcnt vmcnt(1)
	v_ashrrev_i32_e32 v25, 31, v24
	v_lshl_add_u64 v[24:25], v[24:25], 3, s[10:11]
	global_load_dwordx2 v[24:25], v[24:25], off
	s_waitcnt vmcnt(1)
	v_xor_b32_e32 v28, 0x80000000, v27
	v_mov_b32_e32 v29, v26
	s_waitcnt vmcnt(0)
	v_pk_fma_f32 v[10:11], v[26:27], v[24:25], v[10:11] op_sel_hi:[1,0,1]
	s_nop 0
	v_pk_fma_f32 v[10:11], v[28:29], v[24:25], v[10:11] op_sel:[0,1,0]
	s_branch .LBB50_9
.LBB50_12:                              ;   in Loop: Header=BB50_7 Depth=2
	s_or_b64 exec, exec, s[36:37]
.LBB50_13:                              ;   in Loop: Header=BB50_7 Depth=2
	s_or_b64 exec, exec, s[34:35]
	s_waitcnt vmcnt(1)
	v_pk_add_f32 v[4:5], v[4:5], v[10:11] neg_lo:[0,1] neg_hi:[0,1]
	v_cmp_gt_i32_e32 vcc, v0, v8
	s_and_saveexec_b64 s[2:3], vcc
	s_cbranch_execz .LBB50_15
; %bb.14:                               ;   in Loop: Header=BB50_7 Depth=2
	s_waitcnt vmcnt(0)
	v_mul_f32_e32 v8, v7, v7
	v_fmac_f32_e32 v8, v6, v6
	v_div_scale_f32 v9, s[34:35], v8, v8, 1.0
	v_rcp_f32_e32 v10, v9
	v_div_scale_f32 v11, vcc, 1.0, v8, 1.0
	v_fma_f32 v12, -v9, v10, 1.0
	v_fmac_f32_e32 v10, v12, v10
	v_mul_f32_e32 v12, v11, v10
	v_fma_f32 v13, -v9, v12, v11
	v_fmac_f32_e32 v12, v13, v10
	v_fma_f32 v9, -v9, v12, v11
	v_div_fmas_f32 v9, v9, v10, v12
	v_xor_b32_e32 v11, 0x80000000, v4
	v_mov_b32_e32 v10, v5
	v_pk_mul_f32 v[10:11], v[6:7], v[10:11] op_sel:[1,0]
	v_div_fixup_f32 v8, v9, v8, 1.0
	v_pk_fma_f32 v[4:5], v[4:5], v[6:7], v[10:11] op_sel_hi:[1,0,1]
	s_nop 0
	v_pk_mul_f32 v[4:5], v[8:9], v[4:5] op_sel_hi:[0,1]
.LBB50_15:                              ;   in Loop: Header=BB50_7 Depth=2
	s_or_b64 exec, exec, s[2:3]
	v_cmp_gt_f32_e32 vcc, 0, v4
                                        ; implicit-def: $vgpr8
	s_waitcnt vmcnt(0)
	s_nop 0
	v_cndmask_b32_e64 v6, v4, -v4, vcc
	v_cmp_gt_f32_e32 vcc, 0, v5
	s_nop 1
	v_cndmask_b32_e64 v7, v5, -v5, vcc
	v_cmp_ngt_f32_e32 vcc, v6, v7
	s_and_saveexec_b64 s[2:3], vcc
	s_xor_b64 s[34:35], exec, s[2:3]
	s_cbranch_execnz .LBB50_18
; %bb.16:                               ;   in Loop: Header=BB50_7 Depth=2
	s_andn2_saveexec_b64 s[34:35], s[34:35]
	s_cbranch_execnz .LBB50_21
.LBB50_17:                              ;   in Loop: Header=BB50_7 Depth=2
	s_or_b64 exec, exec, s[34:35]
	v_cmp_class_f32_e64 s[34:35], v8, s41
	s_and_saveexec_b64 s[2:3], s[34:35]
	s_cbranch_execz .LBB50_6
	s_branch .LBB50_22
.LBB50_18:                              ;   in Loop: Header=BB50_7 Depth=2
	v_mov_b32_e32 v8, 0
	v_cmp_neq_f32_e32 vcc, 0, v5
	s_and_saveexec_b64 s[36:37], vcc
	s_cbranch_execz .LBB50_20
; %bb.19:                               ;   in Loop: Header=BB50_7 Depth=2
	v_div_scale_f32 v8, s[2:3], v7, v7, v6
	v_rcp_f32_e32 v9, v8
	v_div_scale_f32 v10, vcc, v6, v7, v6
	v_fma_f32 v11, -v8, v9, 1.0
	v_fmac_f32_e32 v9, v11, v9
	v_mul_f32_e32 v11, v10, v9
	v_fma_f32 v12, -v8, v11, v10
	v_fmac_f32_e32 v11, v12, v9
	v_fma_f32 v8, -v8, v11, v10
	v_div_fmas_f32 v8, v8, v9, v11
	v_div_fixup_f32 v6, v8, v7, v6
	v_fma_f32 v6, v6, v6, 1.0
	v_mul_f32_e32 v8, 0x4f800000, v6
	v_cmp_gt_f32_e32 vcc, s40, v6
	s_nop 1
	v_cndmask_b32_e32 v6, v6, v8, vcc
	v_sqrt_f32_e32 v8, v6
	s_nop 0
	v_add_u32_e32 v9, -1, v8
	v_fma_f32 v10, -v9, v8, v6
	v_cmp_ge_f32_e64 s[2:3], 0, v10
	v_add_u32_e32 v10, 1, v8
	s_nop 0
	v_cndmask_b32_e64 v9, v8, v9, s[2:3]
	v_fma_f32 v8, -v10, v8, v6
	v_cmp_lt_f32_e64 s[2:3], 0, v8
	s_nop 1
	v_cndmask_b32_e64 v8, v9, v10, s[2:3]
	v_mul_f32_e32 v9, 0x37800000, v8
	v_cndmask_b32_e32 v8, v8, v9, vcc
	v_cmp_class_f32_e32 vcc, v6, v18
	s_nop 1
	v_cndmask_b32_e32 v6, v8, v6, vcc
	v_mul_f32_e32 v8, v7, v6
.LBB50_20:                              ;   in Loop: Header=BB50_7 Depth=2
	s_or_b64 exec, exec, s[36:37]
                                        ; implicit-def: $vgpr6
                                        ; implicit-def: $vgpr7
	s_andn2_saveexec_b64 s[34:35], s[34:35]
	s_cbranch_execz .LBB50_17
.LBB50_21:                              ;   in Loop: Header=BB50_7 Depth=2
	v_div_scale_f32 v8, s[2:3], v6, v6, v7
	v_rcp_f32_e32 v9, v8
	v_div_scale_f32 v10, vcc, v7, v6, v7
	v_fma_f32 v11, -v8, v9, 1.0
	v_fmac_f32_e32 v9, v11, v9
	v_mul_f32_e32 v11, v10, v9
	v_fma_f32 v12, -v8, v11, v10
	v_fmac_f32_e32 v11, v12, v9
	v_fma_f32 v8, -v8, v11, v10
	v_div_fmas_f32 v8, v8, v9, v11
	v_div_fixup_f32 v7, v8, v6, v7
	v_fma_f32 v7, v7, v7, 1.0
	v_mul_f32_e32 v8, 0x4f800000, v7
	v_cmp_gt_f32_e32 vcc, s40, v7
	s_nop 1
	v_cndmask_b32_e32 v7, v7, v8, vcc
	v_sqrt_f32_e32 v8, v7
	s_nop 0
	v_add_u32_e32 v9, -1, v8
	v_fma_f32 v10, -v9, v8, v7
	v_cmp_ge_f32_e64 s[2:3], 0, v10
	v_add_u32_e32 v10, 1, v8
	s_nop 0
	v_cndmask_b32_e64 v9, v8, v9, s[2:3]
	v_fma_f32 v8, -v10, v8, v7
	v_cmp_lt_f32_e64 s[2:3], 0, v8
	s_nop 1
	v_cndmask_b32_e64 v8, v9, v10, s[2:3]
	v_mul_f32_e32 v9, 0x37800000, v8
	v_cndmask_b32_e32 v8, v8, v9, vcc
	v_cmp_class_f32_e32 vcc, v7, v18
	s_nop 1
	v_cndmask_b32_e32 v7, v8, v7, vcc
	v_mul_f32_e32 v8, v6, v7
	s_or_b64 exec, exec, s[34:35]
	v_cmp_class_f32_e64 s[34:35], v8, s41
	s_and_saveexec_b64 s[2:3], s[34:35]
	s_cbranch_execz .LBB50_6
.LBB50_22:                              ;   in Loop: Header=BB50_7 Depth=2
	v_lshl_add_u64 v[6:7], v[2:3], 3, s[10:11]
	global_store_dwordx2 v[6:7], v[4:5], off
	s_branch .LBB50_6
.LBB50_23:
	s_endpgm
	.section	.rodata,"a",@progbits
	.p2align	6, 0x0
	.amdhsa_kernel _ZN9rocsparseL16kernel_calculateILi1024ELi32ELb0E21rocsparse_complex_numIfEiiEEvT4_T3_PKS4_S6_PKS3_PKT2_21rocsparse_index_base_S6_S6_S8_S6_S6_S8_S6_PS9_PNS_15floating_traitsIS9_E6data_tEPKSG_
		.amdhsa_group_segment_fixed_size 0
		.amdhsa_private_segment_fixed_size 0
		.amdhsa_kernarg_size 128
		.amdhsa_user_sgpr_count 2
		.amdhsa_user_sgpr_dispatch_ptr 0
		.amdhsa_user_sgpr_queue_ptr 0
		.amdhsa_user_sgpr_kernarg_segment_ptr 1
		.amdhsa_user_sgpr_dispatch_id 0
		.amdhsa_user_sgpr_kernarg_preload_length 0
		.amdhsa_user_sgpr_kernarg_preload_offset 0
		.amdhsa_user_sgpr_private_segment_size 0
		.amdhsa_uses_dynamic_stack 0
		.amdhsa_enable_private_segment 0
		.amdhsa_system_sgpr_workgroup_id_x 1
		.amdhsa_system_sgpr_workgroup_id_y 0
		.amdhsa_system_sgpr_workgroup_id_z 0
		.amdhsa_system_sgpr_workgroup_info 0
		.amdhsa_system_vgpr_workitem_id 0
		.amdhsa_next_free_vgpr 30
		.amdhsa_next_free_sgpr 42
		.amdhsa_accum_offset 32
		.amdhsa_reserve_vcc 1
		.amdhsa_float_round_mode_32 0
		.amdhsa_float_round_mode_16_64 0
		.amdhsa_float_denorm_mode_32 3
		.amdhsa_float_denorm_mode_16_64 3
		.amdhsa_dx10_clamp 1
		.amdhsa_ieee_mode 1
		.amdhsa_fp16_overflow 0
		.amdhsa_tg_split 0
		.amdhsa_exception_fp_ieee_invalid_op 0
		.amdhsa_exception_fp_denorm_src 0
		.amdhsa_exception_fp_ieee_div_zero 0
		.amdhsa_exception_fp_ieee_overflow 0
		.amdhsa_exception_fp_ieee_underflow 0
		.amdhsa_exception_fp_ieee_inexact 0
		.amdhsa_exception_int_div_zero 0
	.end_amdhsa_kernel
	.section	.text._ZN9rocsparseL16kernel_calculateILi1024ELi32ELb0E21rocsparse_complex_numIfEiiEEvT4_T3_PKS4_S6_PKS3_PKT2_21rocsparse_index_base_S6_S6_S8_S6_S6_S8_S6_PS9_PNS_15floating_traitsIS9_E6data_tEPKSG_,"axG",@progbits,_ZN9rocsparseL16kernel_calculateILi1024ELi32ELb0E21rocsparse_complex_numIfEiiEEvT4_T3_PKS4_S6_PKS3_PKT2_21rocsparse_index_base_S6_S6_S8_S6_S6_S8_S6_PS9_PNS_15floating_traitsIS9_E6data_tEPKSG_,comdat
.Lfunc_end50:
	.size	_ZN9rocsparseL16kernel_calculateILi1024ELi32ELb0E21rocsparse_complex_numIfEiiEEvT4_T3_PKS4_S6_PKS3_PKT2_21rocsparse_index_base_S6_S6_S8_S6_S6_S8_S6_PS9_PNS_15floating_traitsIS9_E6data_tEPKSG_, .Lfunc_end50-_ZN9rocsparseL16kernel_calculateILi1024ELi32ELb0E21rocsparse_complex_numIfEiiEEvT4_T3_PKS4_S6_PKS3_PKT2_21rocsparse_index_base_S6_S6_S8_S6_S6_S8_S6_PS9_PNS_15floating_traitsIS9_E6data_tEPKSG_
                                        ; -- End function
	.set _ZN9rocsparseL16kernel_calculateILi1024ELi32ELb0E21rocsparse_complex_numIfEiiEEvT4_T3_PKS4_S6_PKS3_PKT2_21rocsparse_index_base_S6_S6_S8_S6_S6_S8_S6_PS9_PNS_15floating_traitsIS9_E6data_tEPKSG_.num_vgpr, 30
	.set _ZN9rocsparseL16kernel_calculateILi1024ELi32ELb0E21rocsparse_complex_numIfEiiEEvT4_T3_PKS4_S6_PKS3_PKT2_21rocsparse_index_base_S6_S6_S8_S6_S6_S8_S6_PS9_PNS_15floating_traitsIS9_E6data_tEPKSG_.num_agpr, 0
	.set _ZN9rocsparseL16kernel_calculateILi1024ELi32ELb0E21rocsparse_complex_numIfEiiEEvT4_T3_PKS4_S6_PKS3_PKT2_21rocsparse_index_base_S6_S6_S8_S6_S6_S8_S6_PS9_PNS_15floating_traitsIS9_E6data_tEPKSG_.numbered_sgpr, 42
	.set _ZN9rocsparseL16kernel_calculateILi1024ELi32ELb0E21rocsparse_complex_numIfEiiEEvT4_T3_PKS4_S6_PKS3_PKT2_21rocsparse_index_base_S6_S6_S8_S6_S6_S8_S6_PS9_PNS_15floating_traitsIS9_E6data_tEPKSG_.num_named_barrier, 0
	.set _ZN9rocsparseL16kernel_calculateILi1024ELi32ELb0E21rocsparse_complex_numIfEiiEEvT4_T3_PKS4_S6_PKS3_PKT2_21rocsparse_index_base_S6_S6_S8_S6_S6_S8_S6_PS9_PNS_15floating_traitsIS9_E6data_tEPKSG_.private_seg_size, 0
	.set _ZN9rocsparseL16kernel_calculateILi1024ELi32ELb0E21rocsparse_complex_numIfEiiEEvT4_T3_PKS4_S6_PKS3_PKT2_21rocsparse_index_base_S6_S6_S8_S6_S6_S8_S6_PS9_PNS_15floating_traitsIS9_E6data_tEPKSG_.uses_vcc, 1
	.set _ZN9rocsparseL16kernel_calculateILi1024ELi32ELb0E21rocsparse_complex_numIfEiiEEvT4_T3_PKS4_S6_PKS3_PKT2_21rocsparse_index_base_S6_S6_S8_S6_S6_S8_S6_PS9_PNS_15floating_traitsIS9_E6data_tEPKSG_.uses_flat_scratch, 0
	.set _ZN9rocsparseL16kernel_calculateILi1024ELi32ELb0E21rocsparse_complex_numIfEiiEEvT4_T3_PKS4_S6_PKS3_PKT2_21rocsparse_index_base_S6_S6_S8_S6_S6_S8_S6_PS9_PNS_15floating_traitsIS9_E6data_tEPKSG_.has_dyn_sized_stack, 0
	.set _ZN9rocsparseL16kernel_calculateILi1024ELi32ELb0E21rocsparse_complex_numIfEiiEEvT4_T3_PKS4_S6_PKS3_PKT2_21rocsparse_index_base_S6_S6_S8_S6_S6_S8_S6_PS9_PNS_15floating_traitsIS9_E6data_tEPKSG_.has_recursion, 0
	.set _ZN9rocsparseL16kernel_calculateILi1024ELi32ELb0E21rocsparse_complex_numIfEiiEEvT4_T3_PKS4_S6_PKS3_PKT2_21rocsparse_index_base_S6_S6_S8_S6_S6_S8_S6_PS9_PNS_15floating_traitsIS9_E6data_tEPKSG_.has_indirect_call, 0
	.section	.AMDGPU.csdata,"",@progbits
; Kernel info:
; codeLenInByte = 1424
; TotalNumSgprs: 48
; NumVgprs: 30
; NumAgprs: 0
; TotalNumVgprs: 30
; ScratchSize: 0
; MemoryBound: 0
; FloatMode: 240
; IeeeMode: 1
; LDSByteSize: 0 bytes/workgroup (compile time only)
; SGPRBlocks: 5
; VGPRBlocks: 3
; NumSGPRsForWavesPerEU: 48
; NumVGPRsForWavesPerEU: 30
; AccumOffset: 32
; Occupancy: 8
; WaveLimiterHint : 1
; COMPUTE_PGM_RSRC2:SCRATCH_EN: 0
; COMPUTE_PGM_RSRC2:USER_SGPR: 2
; COMPUTE_PGM_RSRC2:TRAP_HANDLER: 0
; COMPUTE_PGM_RSRC2:TGID_X_EN: 1
; COMPUTE_PGM_RSRC2:TGID_Y_EN: 0
; COMPUTE_PGM_RSRC2:TGID_Z_EN: 0
; COMPUTE_PGM_RSRC2:TIDIG_COMP_CNT: 0
; COMPUTE_PGM_RSRC3_GFX90A:ACCUM_OFFSET: 7
; COMPUTE_PGM_RSRC3_GFX90A:TG_SPLIT: 0
	.section	.text._ZN9rocsparseL16kernel_calculateILi1024ELi64ELb0E21rocsparse_complex_numIfEiiEEvT4_T3_PKS4_S6_PKS3_PKT2_21rocsparse_index_base_S6_S6_S8_S6_S6_S8_S6_PS9_PNS_15floating_traitsIS9_E6data_tEPKSG_,"axG",@progbits,_ZN9rocsparseL16kernel_calculateILi1024ELi64ELb0E21rocsparse_complex_numIfEiiEEvT4_T3_PKS4_S6_PKS3_PKT2_21rocsparse_index_base_S6_S6_S8_S6_S6_S8_S6_PS9_PNS_15floating_traitsIS9_E6data_tEPKSG_,comdat
	.globl	_ZN9rocsparseL16kernel_calculateILi1024ELi64ELb0E21rocsparse_complex_numIfEiiEEvT4_T3_PKS4_S6_PKS3_PKT2_21rocsparse_index_base_S6_S6_S8_S6_S6_S8_S6_PS9_PNS_15floating_traitsIS9_E6data_tEPKSG_ ; -- Begin function _ZN9rocsparseL16kernel_calculateILi1024ELi64ELb0E21rocsparse_complex_numIfEiiEEvT4_T3_PKS4_S6_PKS3_PKT2_21rocsparse_index_base_S6_S6_S8_S6_S6_S8_S6_PS9_PNS_15floating_traitsIS9_E6data_tEPKSG_
	.p2align	8
	.type	_ZN9rocsparseL16kernel_calculateILi1024ELi64ELb0E21rocsparse_complex_numIfEiiEEvT4_T3_PKS4_S6_PKS3_PKT2_21rocsparse_index_base_S6_S6_S8_S6_S6_S8_S6_PS9_PNS_15floating_traitsIS9_E6data_tEPKSG_,@function
_ZN9rocsparseL16kernel_calculateILi1024ELi64ELb0E21rocsparse_complex_numIfEiiEEvT4_T3_PKS4_S6_PKS3_PKT2_21rocsparse_index_base_S6_S6_S8_S6_S6_S8_S6_PS9_PNS_15floating_traitsIS9_E6data_tEPKSG_: ; @_ZN9rocsparseL16kernel_calculateILi1024ELi64ELb0E21rocsparse_complex_numIfEiiEEvT4_T3_PKS4_S6_PKS3_PKT2_21rocsparse_index_base_S6_S6_S8_S6_S6_S8_S6_PS9_PNS_15floating_traitsIS9_E6data_tEPKSG_
; %bb.0:
	s_load_dword s33, s[0:1], 0x0
	v_lshrrev_b32_e32 v1, 6, v0
	v_lshl_or_b32 v16, s2, 10, v1
	s_waitcnt lgkmcnt(0)
	v_cmp_gt_i32_e32 vcc, s33, v16
	s_and_saveexec_b64 s[2:3], vcc
	s_cbranch_execz .LBB51_23
; %bb.1:
	s_load_dword s38, s[0:1], 0x28
	s_load_dwordx8 s[4:11], s[0:1], 0x50
	s_load_dwordx8 s[12:19], s[0:1], 0x30
	s_load_dwordx8 s[20:27], s[0:1], 0x8
	v_and_b32_e32 v0, 63, v0
	s_waitcnt lgkmcnt(0)
	v_subrev_u32_e32 v17, s38, v0
	s_mov_b32 s39, 0
	s_mov_b32 s40, 0xf800000
	v_mov_b32_e32 v18, 0x260
	s_movk_i32 s41, 0x1f8
	s_branch .LBB51_3
.LBB51_2:                               ;   in Loop: Header=BB51_3 Depth=1
	s_or_b64 exec, exec, s[28:29]
	s_add_i32 s39, s39, 1
	s_cmp_lg_u32 s39, 64
	s_cbranch_scc0 .LBB51_23
.LBB51_3:                               ; =>This Loop Header: Depth=1
                                        ;     Child Loop BB51_7 Depth 2
                                        ;       Child Loop BB51_10 Depth 3
	v_lshl_add_u32 v0, s39, 4, v16
	v_cmp_gt_i32_e32 vcc, s33, v0
	s_and_saveexec_b64 s[28:29], vcc
	s_cbranch_execz .LBB51_2
; %bb.4:                                ;   in Loop: Header=BB51_3 Depth=1
	v_ashrrev_i32_e32 v1, 31, v0
	v_lshlrev_b64 v[4:5], 2, v[0:1]
	v_lshl_add_u64 v[2:3], s[22:23], 0, v[4:5]
	global_load_dword v1, v[2:3], off
	v_lshl_add_u64 v[2:3], s[20:21], 0, v[4:5]
	global_load_dword v2, v[2:3], off
	s_waitcnt vmcnt(1)
	v_subrev_u32_e32 v1, s38, v1
	s_waitcnt vmcnt(0)
	v_add_u32_e32 v2, v17, v2
	v_cmp_lt_i32_e32 vcc, v2, v1
	s_and_b64 exec, exec, vcc
	s_cbranch_execz .LBB51_2
; %bb.5:                                ;   in Loop: Header=BB51_3 Depth=1
	v_lshl_add_u64 v[6:7], s[14:15], 0, v[4:5]
	v_lshl_add_u64 v[4:5], s[12:13], 0, v[4:5]
	global_load_dword v3, v[6:7], off
	s_mov_b64 s[30:31], 0
	global_load_dword v4, v[4:5], off
	s_waitcnt vmcnt(1)
	v_subrev_u32_e32 v19, s38, v3
	s_waitcnt vmcnt(0)
	v_cmp_lt_i32_e64 s[0:1], v4, v3
	v_subrev_u32_e32 v20, s38, v4
	s_branch .LBB51_7
.LBB51_6:                               ;   in Loop: Header=BB51_7 Depth=2
	s_or_b64 exec, exec, s[2:3]
	v_add_u32_e32 v2, 64, v2
	v_cmp_ge_i32_e32 vcc, v2, v1
	s_or_b64 s[30:31], vcc, s[30:31]
	s_andn2_b64 exec, exec, s[30:31]
	s_cbranch_execz .LBB51_2
.LBB51_7:                               ;   Parent Loop BB51_3 Depth=1
                                        ; =>  This Loop Header: Depth=2
                                        ;       Child Loop BB51_10 Depth 3
	v_ashrrev_i32_e32 v3, 31, v2
	v_lshl_add_u64 v[4:5], v[2:3], 2, s[24:25]
	global_load_dword v4, v[4:5], off
	s_waitcnt vmcnt(0)
	v_subrev_u32_e32 v8, s38, v4
	v_ashrrev_i32_e32 v9, 31, v8
	v_lshlrev_b64 v[6:7], 2, v[8:9]
	v_lshl_add_u64 v[4:5], s[14:15], 0, v[6:7]
	global_load_dword v13, v[4:5], off
	v_lshl_add_u64 v[10:11], s[4:5], 0, v[6:7]
	v_lshl_add_u64 v[6:7], s[18:19], 0, v[6:7]
	global_load_dword v12, v[6:7], off
	global_load_dword v9, v[10:11], off
	v_lshl_add_u64 v[4:5], v[2:3], 3, s[26:27]
	global_load_dwordx2 v[4:5], v[4:5], off
	v_mov_b32_e32 v11, 0
	v_mov_b32_e32 v10, v11
	s_waitcnt vmcnt(3)
	v_subrev_u32_e32 v6, s38, v13
	v_ashrrev_i32_e32 v7, 31, v6
	v_lshl_add_u64 v[6:7], v[6:7], 3, s[10:11]
	global_load_dwordx2 v[6:7], v[6:7], off
	s_waitcnt vmcnt(2)
	v_cmp_lt_i32_e32 vcc, v12, v9
	s_and_b64 s[2:3], s[0:1], vcc
	s_and_saveexec_b64 s[34:35], s[2:3]
	s_cbranch_execz .LBB51_13
; %bb.8:                                ;   in Loop: Header=BB51_7 Depth=2
	v_mov_b32_e32 v10, 0
	v_subrev_u32_e32 v9, s38, v9
	v_subrev_u32_e32 v12, s38, v12
	s_mov_b64 s[36:37], 0
	v_mov_b32_e32 v14, v20
	v_mov_b32_e32 v11, v10
	s_branch .LBB51_10
.LBB51_9:                               ;   in Loop: Header=BB51_10 Depth=3
	s_or_b64 exec, exec, s[2:3]
	v_cmp_le_i32_e32 vcc, v21, v22
	s_nop 1
	v_addc_co_u32_e32 v14, vcc, 0, v14, vcc
	v_cmp_ge_i32_e32 vcc, v21, v22
	s_nop 1
	v_addc_co_u32_e32 v12, vcc, 0, v12, vcc
	v_cmp_ge_i32_e32 vcc, v14, v19
	v_cmp_ge_i32_e64 s[2:3], v12, v9
	s_or_b64 s[2:3], vcc, s[2:3]
	s_and_b64 s[2:3], exec, s[2:3]
	s_or_b64 s[36:37], s[2:3], s[36:37]
	s_andn2_b64 exec, exec, s[36:37]
	s_cbranch_execz .LBB51_12
.LBB51_10:                              ;   Parent Loop BB51_3 Depth=1
                                        ;     Parent Loop BB51_7 Depth=2
                                        ; =>    This Inner Loop Header: Depth=3
	v_ashrrev_i32_e32 v15, 31, v14
	v_lshl_add_u64 v[22:23], v[14:15], 2, s[16:17]
	v_ashrrev_i32_e32 v13, 31, v12
	global_load_dword v21, v[22:23], off
	v_lshl_add_u64 v[22:23], v[12:13], 2, s[6:7]
	global_load_dword v22, v[22:23], off
	s_waitcnt vmcnt(0)
	v_cmp_eq_u32_e32 vcc, v21, v22
	s_and_saveexec_b64 s[2:3], vcc
	s_cbranch_execz .LBB51_9
; %bb.11:                               ;   in Loop: Header=BB51_10 Depth=3
	v_lshl_add_u64 v[24:25], v[12:13], 2, s[8:9]
	global_load_dword v24, v[24:25], off
	v_lshl_add_u64 v[26:27], v[14:15], 3, s[10:11]
	global_load_dwordx2 v[26:27], v[26:27], off
	s_waitcnt vmcnt(1)
	v_ashrrev_i32_e32 v25, 31, v24
	v_lshl_add_u64 v[24:25], v[24:25], 3, s[10:11]
	global_load_dwordx2 v[24:25], v[24:25], off
	s_waitcnt vmcnt(1)
	v_xor_b32_e32 v28, 0x80000000, v27
	v_mov_b32_e32 v29, v26
	s_waitcnt vmcnt(0)
	v_pk_fma_f32 v[10:11], v[26:27], v[24:25], v[10:11] op_sel_hi:[1,0,1]
	s_nop 0
	v_pk_fma_f32 v[10:11], v[28:29], v[24:25], v[10:11] op_sel:[0,1,0]
	s_branch .LBB51_9
.LBB51_12:                              ;   in Loop: Header=BB51_7 Depth=2
	s_or_b64 exec, exec, s[36:37]
.LBB51_13:                              ;   in Loop: Header=BB51_7 Depth=2
	s_or_b64 exec, exec, s[34:35]
	s_waitcnt vmcnt(1)
	v_pk_add_f32 v[4:5], v[4:5], v[10:11] neg_lo:[0,1] neg_hi:[0,1]
	v_cmp_gt_i32_e32 vcc, v0, v8
	s_and_saveexec_b64 s[2:3], vcc
	s_cbranch_execz .LBB51_15
; %bb.14:                               ;   in Loop: Header=BB51_7 Depth=2
	s_waitcnt vmcnt(0)
	v_mul_f32_e32 v8, v7, v7
	v_fmac_f32_e32 v8, v6, v6
	v_div_scale_f32 v9, s[34:35], v8, v8, 1.0
	v_rcp_f32_e32 v10, v9
	v_div_scale_f32 v11, vcc, 1.0, v8, 1.0
	v_fma_f32 v12, -v9, v10, 1.0
	v_fmac_f32_e32 v10, v12, v10
	v_mul_f32_e32 v12, v11, v10
	v_fma_f32 v13, -v9, v12, v11
	v_fmac_f32_e32 v12, v13, v10
	v_fma_f32 v9, -v9, v12, v11
	v_div_fmas_f32 v9, v9, v10, v12
	v_xor_b32_e32 v11, 0x80000000, v4
	v_mov_b32_e32 v10, v5
	v_pk_mul_f32 v[10:11], v[6:7], v[10:11] op_sel:[1,0]
	v_div_fixup_f32 v8, v9, v8, 1.0
	v_pk_fma_f32 v[4:5], v[4:5], v[6:7], v[10:11] op_sel_hi:[1,0,1]
	s_nop 0
	v_pk_mul_f32 v[4:5], v[8:9], v[4:5] op_sel_hi:[0,1]
.LBB51_15:                              ;   in Loop: Header=BB51_7 Depth=2
	s_or_b64 exec, exec, s[2:3]
	v_cmp_gt_f32_e32 vcc, 0, v4
                                        ; implicit-def: $vgpr8
	s_waitcnt vmcnt(0)
	s_nop 0
	v_cndmask_b32_e64 v6, v4, -v4, vcc
	v_cmp_gt_f32_e32 vcc, 0, v5
	s_nop 1
	v_cndmask_b32_e64 v7, v5, -v5, vcc
	v_cmp_ngt_f32_e32 vcc, v6, v7
	s_and_saveexec_b64 s[2:3], vcc
	s_xor_b64 s[34:35], exec, s[2:3]
	s_cbranch_execnz .LBB51_18
; %bb.16:                               ;   in Loop: Header=BB51_7 Depth=2
	s_andn2_saveexec_b64 s[34:35], s[34:35]
	s_cbranch_execnz .LBB51_21
.LBB51_17:                              ;   in Loop: Header=BB51_7 Depth=2
	s_or_b64 exec, exec, s[34:35]
	v_cmp_class_f32_e64 s[34:35], v8, s41
	s_and_saveexec_b64 s[2:3], s[34:35]
	s_cbranch_execz .LBB51_6
	s_branch .LBB51_22
.LBB51_18:                              ;   in Loop: Header=BB51_7 Depth=2
	v_mov_b32_e32 v8, 0
	v_cmp_neq_f32_e32 vcc, 0, v5
	s_and_saveexec_b64 s[36:37], vcc
	s_cbranch_execz .LBB51_20
; %bb.19:                               ;   in Loop: Header=BB51_7 Depth=2
	v_div_scale_f32 v8, s[2:3], v7, v7, v6
	v_rcp_f32_e32 v9, v8
	v_div_scale_f32 v10, vcc, v6, v7, v6
	v_fma_f32 v11, -v8, v9, 1.0
	v_fmac_f32_e32 v9, v11, v9
	v_mul_f32_e32 v11, v10, v9
	v_fma_f32 v12, -v8, v11, v10
	v_fmac_f32_e32 v11, v12, v9
	v_fma_f32 v8, -v8, v11, v10
	v_div_fmas_f32 v8, v8, v9, v11
	v_div_fixup_f32 v6, v8, v7, v6
	v_fma_f32 v6, v6, v6, 1.0
	v_mul_f32_e32 v8, 0x4f800000, v6
	v_cmp_gt_f32_e32 vcc, s40, v6
	s_nop 1
	v_cndmask_b32_e32 v6, v6, v8, vcc
	v_sqrt_f32_e32 v8, v6
	s_nop 0
	v_add_u32_e32 v9, -1, v8
	v_fma_f32 v10, -v9, v8, v6
	v_cmp_ge_f32_e64 s[2:3], 0, v10
	v_add_u32_e32 v10, 1, v8
	s_nop 0
	v_cndmask_b32_e64 v9, v8, v9, s[2:3]
	v_fma_f32 v8, -v10, v8, v6
	v_cmp_lt_f32_e64 s[2:3], 0, v8
	s_nop 1
	v_cndmask_b32_e64 v8, v9, v10, s[2:3]
	v_mul_f32_e32 v9, 0x37800000, v8
	v_cndmask_b32_e32 v8, v8, v9, vcc
	v_cmp_class_f32_e32 vcc, v6, v18
	s_nop 1
	v_cndmask_b32_e32 v6, v8, v6, vcc
	v_mul_f32_e32 v8, v7, v6
.LBB51_20:                              ;   in Loop: Header=BB51_7 Depth=2
	s_or_b64 exec, exec, s[36:37]
                                        ; implicit-def: $vgpr6
                                        ; implicit-def: $vgpr7
	s_andn2_saveexec_b64 s[34:35], s[34:35]
	s_cbranch_execz .LBB51_17
.LBB51_21:                              ;   in Loop: Header=BB51_7 Depth=2
	v_div_scale_f32 v8, s[2:3], v6, v6, v7
	v_rcp_f32_e32 v9, v8
	v_div_scale_f32 v10, vcc, v7, v6, v7
	v_fma_f32 v11, -v8, v9, 1.0
	v_fmac_f32_e32 v9, v11, v9
	v_mul_f32_e32 v11, v10, v9
	v_fma_f32 v12, -v8, v11, v10
	v_fmac_f32_e32 v11, v12, v9
	v_fma_f32 v8, -v8, v11, v10
	v_div_fmas_f32 v8, v8, v9, v11
	v_div_fixup_f32 v7, v8, v6, v7
	v_fma_f32 v7, v7, v7, 1.0
	v_mul_f32_e32 v8, 0x4f800000, v7
	v_cmp_gt_f32_e32 vcc, s40, v7
	s_nop 1
	v_cndmask_b32_e32 v7, v7, v8, vcc
	v_sqrt_f32_e32 v8, v7
	s_nop 0
	v_add_u32_e32 v9, -1, v8
	v_fma_f32 v10, -v9, v8, v7
	v_cmp_ge_f32_e64 s[2:3], 0, v10
	v_add_u32_e32 v10, 1, v8
	s_nop 0
	v_cndmask_b32_e64 v9, v8, v9, s[2:3]
	v_fma_f32 v8, -v10, v8, v7
	v_cmp_lt_f32_e64 s[2:3], 0, v8
	s_nop 1
	v_cndmask_b32_e64 v8, v9, v10, s[2:3]
	v_mul_f32_e32 v9, 0x37800000, v8
	v_cndmask_b32_e32 v8, v8, v9, vcc
	v_cmp_class_f32_e32 vcc, v7, v18
	s_nop 1
	v_cndmask_b32_e32 v7, v8, v7, vcc
	v_mul_f32_e32 v8, v6, v7
	s_or_b64 exec, exec, s[34:35]
	v_cmp_class_f32_e64 s[34:35], v8, s41
	s_and_saveexec_b64 s[2:3], s[34:35]
	s_cbranch_execz .LBB51_6
.LBB51_22:                              ;   in Loop: Header=BB51_7 Depth=2
	v_lshl_add_u64 v[6:7], v[2:3], 3, s[10:11]
	global_store_dwordx2 v[6:7], v[4:5], off
	s_branch .LBB51_6
.LBB51_23:
	s_endpgm
	.section	.rodata,"a",@progbits
	.p2align	6, 0x0
	.amdhsa_kernel _ZN9rocsparseL16kernel_calculateILi1024ELi64ELb0E21rocsparse_complex_numIfEiiEEvT4_T3_PKS4_S6_PKS3_PKT2_21rocsparse_index_base_S6_S6_S8_S6_S6_S8_S6_PS9_PNS_15floating_traitsIS9_E6data_tEPKSG_
		.amdhsa_group_segment_fixed_size 0
		.amdhsa_private_segment_fixed_size 0
		.amdhsa_kernarg_size 128
		.amdhsa_user_sgpr_count 2
		.amdhsa_user_sgpr_dispatch_ptr 0
		.amdhsa_user_sgpr_queue_ptr 0
		.amdhsa_user_sgpr_kernarg_segment_ptr 1
		.amdhsa_user_sgpr_dispatch_id 0
		.amdhsa_user_sgpr_kernarg_preload_length 0
		.amdhsa_user_sgpr_kernarg_preload_offset 0
		.amdhsa_user_sgpr_private_segment_size 0
		.amdhsa_uses_dynamic_stack 0
		.amdhsa_enable_private_segment 0
		.amdhsa_system_sgpr_workgroup_id_x 1
		.amdhsa_system_sgpr_workgroup_id_y 0
		.amdhsa_system_sgpr_workgroup_id_z 0
		.amdhsa_system_sgpr_workgroup_info 0
		.amdhsa_system_vgpr_workitem_id 0
		.amdhsa_next_free_vgpr 30
		.amdhsa_next_free_sgpr 42
		.amdhsa_accum_offset 32
		.amdhsa_reserve_vcc 1
		.amdhsa_float_round_mode_32 0
		.amdhsa_float_round_mode_16_64 0
		.amdhsa_float_denorm_mode_32 3
		.amdhsa_float_denorm_mode_16_64 3
		.amdhsa_dx10_clamp 1
		.amdhsa_ieee_mode 1
		.amdhsa_fp16_overflow 0
		.amdhsa_tg_split 0
		.amdhsa_exception_fp_ieee_invalid_op 0
		.amdhsa_exception_fp_denorm_src 0
		.amdhsa_exception_fp_ieee_div_zero 0
		.amdhsa_exception_fp_ieee_overflow 0
		.amdhsa_exception_fp_ieee_underflow 0
		.amdhsa_exception_fp_ieee_inexact 0
		.amdhsa_exception_int_div_zero 0
	.end_amdhsa_kernel
	.section	.text._ZN9rocsparseL16kernel_calculateILi1024ELi64ELb0E21rocsparse_complex_numIfEiiEEvT4_T3_PKS4_S6_PKS3_PKT2_21rocsparse_index_base_S6_S6_S8_S6_S6_S8_S6_PS9_PNS_15floating_traitsIS9_E6data_tEPKSG_,"axG",@progbits,_ZN9rocsparseL16kernel_calculateILi1024ELi64ELb0E21rocsparse_complex_numIfEiiEEvT4_T3_PKS4_S6_PKS3_PKT2_21rocsparse_index_base_S6_S6_S8_S6_S6_S8_S6_PS9_PNS_15floating_traitsIS9_E6data_tEPKSG_,comdat
.Lfunc_end51:
	.size	_ZN9rocsparseL16kernel_calculateILi1024ELi64ELb0E21rocsparse_complex_numIfEiiEEvT4_T3_PKS4_S6_PKS3_PKT2_21rocsparse_index_base_S6_S6_S8_S6_S6_S8_S6_PS9_PNS_15floating_traitsIS9_E6data_tEPKSG_, .Lfunc_end51-_ZN9rocsparseL16kernel_calculateILi1024ELi64ELb0E21rocsparse_complex_numIfEiiEEvT4_T3_PKS4_S6_PKS3_PKT2_21rocsparse_index_base_S6_S6_S8_S6_S6_S8_S6_PS9_PNS_15floating_traitsIS9_E6data_tEPKSG_
                                        ; -- End function
	.set _ZN9rocsparseL16kernel_calculateILi1024ELi64ELb0E21rocsparse_complex_numIfEiiEEvT4_T3_PKS4_S6_PKS3_PKT2_21rocsparse_index_base_S6_S6_S8_S6_S6_S8_S6_PS9_PNS_15floating_traitsIS9_E6data_tEPKSG_.num_vgpr, 30
	.set _ZN9rocsparseL16kernel_calculateILi1024ELi64ELb0E21rocsparse_complex_numIfEiiEEvT4_T3_PKS4_S6_PKS3_PKT2_21rocsparse_index_base_S6_S6_S8_S6_S6_S8_S6_PS9_PNS_15floating_traitsIS9_E6data_tEPKSG_.num_agpr, 0
	.set _ZN9rocsparseL16kernel_calculateILi1024ELi64ELb0E21rocsparse_complex_numIfEiiEEvT4_T3_PKS4_S6_PKS3_PKT2_21rocsparse_index_base_S6_S6_S8_S6_S6_S8_S6_PS9_PNS_15floating_traitsIS9_E6data_tEPKSG_.numbered_sgpr, 42
	.set _ZN9rocsparseL16kernel_calculateILi1024ELi64ELb0E21rocsparse_complex_numIfEiiEEvT4_T3_PKS4_S6_PKS3_PKT2_21rocsparse_index_base_S6_S6_S8_S6_S6_S8_S6_PS9_PNS_15floating_traitsIS9_E6data_tEPKSG_.num_named_barrier, 0
	.set _ZN9rocsparseL16kernel_calculateILi1024ELi64ELb0E21rocsparse_complex_numIfEiiEEvT4_T3_PKS4_S6_PKS3_PKT2_21rocsparse_index_base_S6_S6_S8_S6_S6_S8_S6_PS9_PNS_15floating_traitsIS9_E6data_tEPKSG_.private_seg_size, 0
	.set _ZN9rocsparseL16kernel_calculateILi1024ELi64ELb0E21rocsparse_complex_numIfEiiEEvT4_T3_PKS4_S6_PKS3_PKT2_21rocsparse_index_base_S6_S6_S8_S6_S6_S8_S6_PS9_PNS_15floating_traitsIS9_E6data_tEPKSG_.uses_vcc, 1
	.set _ZN9rocsparseL16kernel_calculateILi1024ELi64ELb0E21rocsparse_complex_numIfEiiEEvT4_T3_PKS4_S6_PKS3_PKT2_21rocsparse_index_base_S6_S6_S8_S6_S6_S8_S6_PS9_PNS_15floating_traitsIS9_E6data_tEPKSG_.uses_flat_scratch, 0
	.set _ZN9rocsparseL16kernel_calculateILi1024ELi64ELb0E21rocsparse_complex_numIfEiiEEvT4_T3_PKS4_S6_PKS3_PKT2_21rocsparse_index_base_S6_S6_S8_S6_S6_S8_S6_PS9_PNS_15floating_traitsIS9_E6data_tEPKSG_.has_dyn_sized_stack, 0
	.set _ZN9rocsparseL16kernel_calculateILi1024ELi64ELb0E21rocsparse_complex_numIfEiiEEvT4_T3_PKS4_S6_PKS3_PKT2_21rocsparse_index_base_S6_S6_S8_S6_S6_S8_S6_PS9_PNS_15floating_traitsIS9_E6data_tEPKSG_.has_recursion, 0
	.set _ZN9rocsparseL16kernel_calculateILi1024ELi64ELb0E21rocsparse_complex_numIfEiiEEvT4_T3_PKS4_S6_PKS3_PKT2_21rocsparse_index_base_S6_S6_S8_S6_S6_S8_S6_PS9_PNS_15floating_traitsIS9_E6data_tEPKSG_.has_indirect_call, 0
	.section	.AMDGPU.csdata,"",@progbits
; Kernel info:
; codeLenInByte = 1424
; TotalNumSgprs: 48
; NumVgprs: 30
; NumAgprs: 0
; TotalNumVgprs: 30
; ScratchSize: 0
; MemoryBound: 0
; FloatMode: 240
; IeeeMode: 1
; LDSByteSize: 0 bytes/workgroup (compile time only)
; SGPRBlocks: 5
; VGPRBlocks: 3
; NumSGPRsForWavesPerEU: 48
; NumVGPRsForWavesPerEU: 30
; AccumOffset: 32
; Occupancy: 8
; WaveLimiterHint : 1
; COMPUTE_PGM_RSRC2:SCRATCH_EN: 0
; COMPUTE_PGM_RSRC2:USER_SGPR: 2
; COMPUTE_PGM_RSRC2:TRAP_HANDLER: 0
; COMPUTE_PGM_RSRC2:TGID_X_EN: 1
; COMPUTE_PGM_RSRC2:TGID_Y_EN: 0
; COMPUTE_PGM_RSRC2:TGID_Z_EN: 0
; COMPUTE_PGM_RSRC2:TIDIG_COMP_CNT: 0
; COMPUTE_PGM_RSRC3_GFX90A:ACCUM_OFFSET: 7
; COMPUTE_PGM_RSRC3_GFX90A:TG_SPLIT: 0
	.section	.text._ZN9rocsparseL20kernel_calculate_cooILi1024ELi32ELb0E21rocsparse_complex_numIfEiiEEvT4_T3_PKS3_S6_PKT2_21rocsparse_index_base_PKS4_SC_S6_SC_SC_S6_SC_PS7_PNS_15floating_traitsIS7_E6data_tEPKSG_,"axG",@progbits,_ZN9rocsparseL20kernel_calculate_cooILi1024ELi32ELb0E21rocsparse_complex_numIfEiiEEvT4_T3_PKS3_S6_PKT2_21rocsparse_index_base_PKS4_SC_S6_SC_SC_S6_SC_PS7_PNS_15floating_traitsIS7_E6data_tEPKSG_,comdat
	.globl	_ZN9rocsparseL20kernel_calculate_cooILi1024ELi32ELb0E21rocsparse_complex_numIfEiiEEvT4_T3_PKS3_S6_PKT2_21rocsparse_index_base_PKS4_SC_S6_SC_SC_S6_SC_PS7_PNS_15floating_traitsIS7_E6data_tEPKSG_ ; -- Begin function _ZN9rocsparseL20kernel_calculate_cooILi1024ELi32ELb0E21rocsparse_complex_numIfEiiEEvT4_T3_PKS3_S6_PKT2_21rocsparse_index_base_PKS4_SC_S6_SC_SC_S6_SC_PS7_PNS_15floating_traitsIS7_E6data_tEPKSG_
	.p2align	8
	.type	_ZN9rocsparseL20kernel_calculate_cooILi1024ELi32ELb0E21rocsparse_complex_numIfEiiEEvT4_T3_PKS3_S6_PKT2_21rocsparse_index_base_PKS4_SC_S6_SC_SC_S6_SC_PS7_PNS_15floating_traitsIS7_E6data_tEPKSG_,@function
_ZN9rocsparseL20kernel_calculate_cooILi1024ELi32ELb0E21rocsparse_complex_numIfEiiEEvT4_T3_PKS3_S6_PKT2_21rocsparse_index_base_PKS4_SC_S6_SC_SC_S6_SC_PS7_PNS_15floating_traitsIS7_E6data_tEPKSG_: ; @_ZN9rocsparseL20kernel_calculate_cooILi1024ELi32ELb0E21rocsparse_complex_numIfEiiEEvT4_T3_PKS3_S6_PKT2_21rocsparse_index_base_PKS4_SC_S6_SC_SC_S6_SC_PS7_PNS_15floating_traitsIS7_E6data_tEPKSG_
; %bb.0:
	s_load_dword s30, s[0:1], 0x4
	v_lshl_or_b32 v0, s2, 16, v0
	s_waitcnt lgkmcnt(0)
	v_cmp_gt_i32_e32 vcc, s30, v0
	s_and_saveexec_b64 s[2:3], vcc
	s_cbranch_execz .LBB52_20
; %bb.1:
	s_load_dwordx8 s[4:11], s[0:1], 0x48
	s_load_dwordx4 s[20:23], s[0:1], 0x8
	s_load_dwordx2 s[2:3], s[0:1], 0x18
	s_load_dwordx8 s[12:19], s[0:1], 0x28
	s_load_dword s31, s[0:1], 0x20
	s_mov_b32 s33, 0
	s_mov_b32 s34, 0xf800000
	v_mov_b32_e32 v12, 0x260
	s_movk_i32 s35, 0x1f8
	s_branch .LBB52_3
.LBB52_2:                               ;   in Loop: Header=BB52_3 Depth=1
	s_or_b64 exec, exec, s[24:25]
	s_add_i32 s33, s33, 1
	s_cmp_lg_u32 s33, 64
	v_add_u32_e32 v0, 0x400, v0
	s_cbranch_scc0 .LBB52_20
.LBB52_3:                               ; =>This Loop Header: Depth=1
                                        ;     Child Loop BB52_7 Depth 2
	v_cmp_gt_i32_e32 vcc, s30, v0
	s_and_saveexec_b64 s[24:25], vcc
	s_cbranch_execz .LBB52_2
; %bb.4:                                ;   in Loop: Header=BB52_3 Depth=1
	v_ashrrev_i32_e32 v1, 31, v0
	v_lshlrev_b64 v[2:3], 2, v[0:1]
	s_waitcnt lgkmcnt(0)
	v_lshl_add_u64 v[4:5], s[22:23], 0, v[2:3]
	global_load_dword v13, v[4:5], off
	v_lshl_add_u64 v[2:3], s[20:21], 0, v[2:3]
	global_load_dword v14, v[2:3], off
	s_waitcnt vmcnt(1)
	v_subrev_u32_e32 v2, s31, v13
	v_ashrrev_i32_e32 v3, 31, v2
	v_lshlrev_b64 v[4:5], 2, v[2:3]
	v_lshl_add_u64 v[2:3], s[14:15], 0, v[4:5]
	global_load_dword v15, v[2:3], off
	s_waitcnt vmcnt(1)
	v_subrev_u32_e32 v2, s31, v14
	v_ashrrev_i32_e32 v3, 31, v2
	v_lshlrev_b64 v[6:7], 2, v[2:3]
	v_lshl_add_u64 v[10:11], s[4:5], 0, v[4:5]
	v_lshl_add_u64 v[4:5], s[18:19], 0, v[4:5]
	;; [unrolled: 1-line block ×3, first 2 shown]
	global_load_dword v9, v[10:11], off
	v_lshl_add_u64 v[6:7], s[12:13], 0, v[6:7]
	global_load_dword v11, v[4:5], off
	global_load_dword v8, v[2:3], off
	global_load_dword v10, v[6:7], off
	v_lshl_add_u64 v[2:3], v[0:1], 3, s[2:3]
	global_load_dwordx2 v[2:3], v[2:3], off
	v_mov_b32_e32 v7, 0
	v_mov_b32_e32 v6, v7
	s_waitcnt vmcnt(5)
	v_subrev_u32_e32 v4, s31, v15
	v_ashrrev_i32_e32 v5, 31, v4
	v_lshl_add_u64 v[4:5], v[4:5], 3, s[10:11]
	global_load_dwordx2 v[4:5], v[4:5], off
	s_waitcnt vmcnt(4)
	v_cmp_lt_i32_e64 s[0:1], v11, v9
	s_waitcnt vmcnt(2)
	v_cmp_lt_i32_e32 vcc, v10, v8
	s_and_b64 s[0:1], vcc, s[0:1]
	s_and_saveexec_b64 s[26:27], s[0:1]
	s_cbranch_execz .LBB52_10
; %bb.5:                                ;   in Loop: Header=BB52_3 Depth=1
	v_mov_b32_e32 v6, 0
	v_subrev_u32_e32 v15, s31, v9
	v_subrev_u32_e32 v16, s31, v8
	v_subrev_u32_e32 v8, s31, v11
	v_subrev_u32_e32 v10, s31, v10
	s_mov_b64 s[28:29], 0
	v_mov_b32_e32 v7, v6
	s_branch .LBB52_7
.LBB52_6:                               ;   in Loop: Header=BB52_7 Depth=2
	s_or_b64 exec, exec, s[0:1]
	v_cmp_le_i32_e32 vcc, v17, v18
	s_nop 1
	v_addc_co_u32_e32 v10, vcc, 0, v10, vcc
	v_cmp_ge_i32_e32 vcc, v17, v18
	s_nop 1
	v_addc_co_u32_e32 v8, vcc, 0, v8, vcc
	v_cmp_ge_i32_e32 vcc, v10, v16
	v_cmp_ge_i32_e64 s[0:1], v8, v15
	s_or_b64 s[0:1], vcc, s[0:1]
	s_and_b64 s[0:1], exec, s[0:1]
	s_or_b64 s[28:29], s[0:1], s[28:29]
	s_andn2_b64 exec, exec, s[28:29]
	s_cbranch_execz .LBB52_9
.LBB52_7:                               ;   Parent Loop BB52_3 Depth=1
                                        ; =>  This Inner Loop Header: Depth=2
	v_ashrrev_i32_e32 v11, 31, v10
	v_lshl_add_u64 v[18:19], v[10:11], 2, s[16:17]
	v_ashrrev_i32_e32 v9, 31, v8
	global_load_dword v17, v[18:19], off
	v_lshl_add_u64 v[18:19], v[8:9], 2, s[6:7]
	global_load_dword v18, v[18:19], off
	s_waitcnt vmcnt(0)
	v_cmp_eq_u32_e32 vcc, v17, v18
	s_and_saveexec_b64 s[0:1], vcc
	s_cbranch_execz .LBB52_6
; %bb.8:                                ;   in Loop: Header=BB52_7 Depth=2
	v_lshl_add_u64 v[20:21], v[8:9], 2, s[8:9]
	global_load_dword v20, v[20:21], off
	v_lshl_add_u64 v[22:23], v[10:11], 3, s[10:11]
	global_load_dwordx2 v[22:23], v[22:23], off
	s_waitcnt vmcnt(1)
	v_ashrrev_i32_e32 v21, 31, v20
	v_lshl_add_u64 v[20:21], v[20:21], 3, s[10:11]
	global_load_dwordx2 v[20:21], v[20:21], off
	s_waitcnt vmcnt(1)
	v_xor_b32_e32 v24, 0x80000000, v23
	v_mov_b32_e32 v25, v22
	s_waitcnt vmcnt(0)
	v_pk_fma_f32 v[6:7], v[22:23], v[20:21], v[6:7] op_sel_hi:[1,0,1]
	s_nop 0
	v_pk_fma_f32 v[6:7], v[24:25], v[20:21], v[6:7] op_sel:[0,1,0]
	s_branch .LBB52_6
.LBB52_9:                               ;   in Loop: Header=BB52_3 Depth=1
	s_or_b64 exec, exec, s[28:29]
.LBB52_10:                              ;   in Loop: Header=BB52_3 Depth=1
	s_or_b64 exec, exec, s[26:27]
	s_waitcnt vmcnt(1)
	v_pk_add_f32 v[2:3], v[2:3], v[6:7] neg_lo:[0,1] neg_hi:[0,1]
	v_cmp_gt_i32_e32 vcc, v14, v13
	s_and_saveexec_b64 s[0:1], vcc
	s_cbranch_execz .LBB52_12
; %bb.11:                               ;   in Loop: Header=BB52_3 Depth=1
	s_waitcnt vmcnt(0)
	v_mul_f32_e32 v6, v5, v5
	v_fmac_f32_e32 v6, v4, v4
	v_div_scale_f32 v7, s[26:27], v6, v6, 1.0
	v_rcp_f32_e32 v8, v7
	v_div_scale_f32 v9, vcc, 1.0, v6, 1.0
	v_fma_f32 v10, -v7, v8, 1.0
	v_fmac_f32_e32 v8, v10, v8
	v_mul_f32_e32 v10, v9, v8
	v_fma_f32 v11, -v7, v10, v9
	v_fmac_f32_e32 v10, v11, v8
	v_fma_f32 v7, -v7, v10, v9
	v_div_fmas_f32 v7, v7, v8, v10
	v_xor_b32_e32 v9, 0x80000000, v2
	v_mov_b32_e32 v8, v3
	v_pk_mul_f32 v[8:9], v[4:5], v[8:9] op_sel:[1,0]
	v_div_fixup_f32 v6, v7, v6, 1.0
	v_pk_fma_f32 v[2:3], v[2:3], v[4:5], v[8:9] op_sel_hi:[1,0,1]
	s_nop 0
	v_pk_mul_f32 v[2:3], v[6:7], v[2:3] op_sel_hi:[0,1]
.LBB52_12:                              ;   in Loop: Header=BB52_3 Depth=1
	s_or_b64 exec, exec, s[0:1]
	v_cmp_gt_f32_e32 vcc, 0, v2
                                        ; implicit-def: $vgpr6
	s_waitcnt vmcnt(0)
	s_nop 0
	v_cndmask_b32_e64 v4, v2, -v2, vcc
	v_cmp_gt_f32_e32 vcc, 0, v3
	s_nop 1
	v_cndmask_b32_e64 v5, v3, -v3, vcc
	v_cmp_ngt_f32_e32 vcc, v4, v5
	s_and_saveexec_b64 s[0:1], vcc
	s_xor_b64 s[26:27], exec, s[0:1]
	s_cbranch_execnz .LBB52_15
; %bb.13:                               ;   in Loop: Header=BB52_3 Depth=1
	s_andn2_saveexec_b64 s[26:27], s[26:27]
	s_cbranch_execnz .LBB52_18
.LBB52_14:                              ;   in Loop: Header=BB52_3 Depth=1
	s_or_b64 exec, exec, s[26:27]
	v_cmp_class_f32_e64 s[0:1], v6, s35
	s_and_b64 exec, exec, s[0:1]
	s_cbranch_execz .LBB52_2
	s_branch .LBB52_19
.LBB52_15:                              ;   in Loop: Header=BB52_3 Depth=1
	v_mov_b32_e32 v6, 0
	v_cmp_neq_f32_e32 vcc, 0, v3
	s_and_saveexec_b64 s[28:29], vcc
	s_cbranch_execz .LBB52_17
; %bb.16:                               ;   in Loop: Header=BB52_3 Depth=1
	v_div_scale_f32 v6, s[0:1], v5, v5, v4
	v_rcp_f32_e32 v7, v6
	v_div_scale_f32 v8, vcc, v4, v5, v4
	v_fma_f32 v9, -v6, v7, 1.0
	v_fmac_f32_e32 v7, v9, v7
	v_mul_f32_e32 v9, v8, v7
	v_fma_f32 v10, -v6, v9, v8
	v_fmac_f32_e32 v9, v10, v7
	v_fma_f32 v6, -v6, v9, v8
	v_div_fmas_f32 v6, v6, v7, v9
	v_div_fixup_f32 v4, v6, v5, v4
	v_fma_f32 v4, v4, v4, 1.0
	v_mul_f32_e32 v6, 0x4f800000, v4
	v_cmp_gt_f32_e32 vcc, s34, v4
	s_nop 1
	v_cndmask_b32_e32 v4, v4, v6, vcc
	v_sqrt_f32_e32 v6, v4
	s_nop 0
	v_add_u32_e32 v7, -1, v6
	v_fma_f32 v8, -v7, v6, v4
	v_cmp_ge_f32_e64 s[0:1], 0, v8
	v_add_u32_e32 v8, 1, v6
	s_nop 0
	v_cndmask_b32_e64 v7, v6, v7, s[0:1]
	v_fma_f32 v6, -v8, v6, v4
	v_cmp_lt_f32_e64 s[0:1], 0, v6
	s_nop 1
	v_cndmask_b32_e64 v6, v7, v8, s[0:1]
	v_mul_f32_e32 v7, 0x37800000, v6
	v_cndmask_b32_e32 v6, v6, v7, vcc
	v_cmp_class_f32_e32 vcc, v4, v12
	s_nop 1
	v_cndmask_b32_e32 v4, v6, v4, vcc
	v_mul_f32_e32 v6, v5, v4
.LBB52_17:                              ;   in Loop: Header=BB52_3 Depth=1
	s_or_b64 exec, exec, s[28:29]
                                        ; implicit-def: $vgpr4
                                        ; implicit-def: $vgpr5
	s_andn2_saveexec_b64 s[26:27], s[26:27]
	s_cbranch_execz .LBB52_14
.LBB52_18:                              ;   in Loop: Header=BB52_3 Depth=1
	v_div_scale_f32 v6, s[0:1], v4, v4, v5
	v_rcp_f32_e32 v7, v6
	v_div_scale_f32 v8, vcc, v5, v4, v5
	v_fma_f32 v9, -v6, v7, 1.0
	v_fmac_f32_e32 v7, v9, v7
	v_mul_f32_e32 v9, v8, v7
	v_fma_f32 v10, -v6, v9, v8
	v_fmac_f32_e32 v9, v10, v7
	v_fma_f32 v6, -v6, v9, v8
	v_div_fmas_f32 v6, v6, v7, v9
	v_div_fixup_f32 v5, v6, v4, v5
	v_fma_f32 v5, v5, v5, 1.0
	v_mul_f32_e32 v6, 0x4f800000, v5
	v_cmp_gt_f32_e32 vcc, s34, v5
	s_nop 1
	v_cndmask_b32_e32 v5, v5, v6, vcc
	v_sqrt_f32_e32 v6, v5
	s_nop 0
	v_add_u32_e32 v7, -1, v6
	v_fma_f32 v8, -v7, v6, v5
	v_cmp_ge_f32_e64 s[0:1], 0, v8
	v_add_u32_e32 v8, 1, v6
	s_nop 0
	v_cndmask_b32_e64 v7, v6, v7, s[0:1]
	v_fma_f32 v6, -v8, v6, v5
	v_cmp_lt_f32_e64 s[0:1], 0, v6
	s_nop 1
	v_cndmask_b32_e64 v6, v7, v8, s[0:1]
	v_mul_f32_e32 v7, 0x37800000, v6
	v_cndmask_b32_e32 v6, v6, v7, vcc
	v_cmp_class_f32_e32 vcc, v5, v12
	s_nop 1
	v_cndmask_b32_e32 v5, v6, v5, vcc
	v_mul_f32_e32 v6, v4, v5
	s_or_b64 exec, exec, s[26:27]
	v_cmp_class_f32_e64 s[0:1], v6, s35
	s_and_b64 exec, exec, s[0:1]
	s_cbranch_execz .LBB52_2
.LBB52_19:                              ;   in Loop: Header=BB52_3 Depth=1
	v_lshl_add_u64 v[4:5], v[0:1], 3, s[10:11]
	global_store_dwordx2 v[4:5], v[2:3], off
	s_branch .LBB52_2
.LBB52_20:
	s_endpgm
	.section	.rodata,"a",@progbits
	.p2align	6, 0x0
	.amdhsa_kernel _ZN9rocsparseL20kernel_calculate_cooILi1024ELi32ELb0E21rocsparse_complex_numIfEiiEEvT4_T3_PKS3_S6_PKT2_21rocsparse_index_base_PKS4_SC_S6_SC_SC_S6_SC_PS7_PNS_15floating_traitsIS7_E6data_tEPKSG_
		.amdhsa_group_segment_fixed_size 0
		.amdhsa_private_segment_fixed_size 0
		.amdhsa_kernarg_size 120
		.amdhsa_user_sgpr_count 2
		.amdhsa_user_sgpr_dispatch_ptr 0
		.amdhsa_user_sgpr_queue_ptr 0
		.amdhsa_user_sgpr_kernarg_segment_ptr 1
		.amdhsa_user_sgpr_dispatch_id 0
		.amdhsa_user_sgpr_kernarg_preload_length 0
		.amdhsa_user_sgpr_kernarg_preload_offset 0
		.amdhsa_user_sgpr_private_segment_size 0
		.amdhsa_uses_dynamic_stack 0
		.amdhsa_enable_private_segment 0
		.amdhsa_system_sgpr_workgroup_id_x 1
		.amdhsa_system_sgpr_workgroup_id_y 0
		.amdhsa_system_sgpr_workgroup_id_z 0
		.amdhsa_system_sgpr_workgroup_info 0
		.amdhsa_system_vgpr_workitem_id 0
		.amdhsa_next_free_vgpr 26
		.amdhsa_next_free_sgpr 36
		.amdhsa_accum_offset 28
		.amdhsa_reserve_vcc 1
		.amdhsa_float_round_mode_32 0
		.amdhsa_float_round_mode_16_64 0
		.amdhsa_float_denorm_mode_32 3
		.amdhsa_float_denorm_mode_16_64 3
		.amdhsa_dx10_clamp 1
		.amdhsa_ieee_mode 1
		.amdhsa_fp16_overflow 0
		.amdhsa_tg_split 0
		.amdhsa_exception_fp_ieee_invalid_op 0
		.amdhsa_exception_fp_denorm_src 0
		.amdhsa_exception_fp_ieee_div_zero 0
		.amdhsa_exception_fp_ieee_overflow 0
		.amdhsa_exception_fp_ieee_underflow 0
		.amdhsa_exception_fp_ieee_inexact 0
		.amdhsa_exception_int_div_zero 0
	.end_amdhsa_kernel
	.section	.text._ZN9rocsparseL20kernel_calculate_cooILi1024ELi32ELb0E21rocsparse_complex_numIfEiiEEvT4_T3_PKS3_S6_PKT2_21rocsparse_index_base_PKS4_SC_S6_SC_SC_S6_SC_PS7_PNS_15floating_traitsIS7_E6data_tEPKSG_,"axG",@progbits,_ZN9rocsparseL20kernel_calculate_cooILi1024ELi32ELb0E21rocsparse_complex_numIfEiiEEvT4_T3_PKS3_S6_PKT2_21rocsparse_index_base_PKS4_SC_S6_SC_SC_S6_SC_PS7_PNS_15floating_traitsIS7_E6data_tEPKSG_,comdat
.Lfunc_end52:
	.size	_ZN9rocsparseL20kernel_calculate_cooILi1024ELi32ELb0E21rocsparse_complex_numIfEiiEEvT4_T3_PKS3_S6_PKT2_21rocsparse_index_base_PKS4_SC_S6_SC_SC_S6_SC_PS7_PNS_15floating_traitsIS7_E6data_tEPKSG_, .Lfunc_end52-_ZN9rocsparseL20kernel_calculate_cooILi1024ELi32ELb0E21rocsparse_complex_numIfEiiEEvT4_T3_PKS3_S6_PKT2_21rocsparse_index_base_PKS4_SC_S6_SC_SC_S6_SC_PS7_PNS_15floating_traitsIS7_E6data_tEPKSG_
                                        ; -- End function
	.set _ZN9rocsparseL20kernel_calculate_cooILi1024ELi32ELb0E21rocsparse_complex_numIfEiiEEvT4_T3_PKS3_S6_PKT2_21rocsparse_index_base_PKS4_SC_S6_SC_SC_S6_SC_PS7_PNS_15floating_traitsIS7_E6data_tEPKSG_.num_vgpr, 26
	.set _ZN9rocsparseL20kernel_calculate_cooILi1024ELi32ELb0E21rocsparse_complex_numIfEiiEEvT4_T3_PKS3_S6_PKT2_21rocsparse_index_base_PKS4_SC_S6_SC_SC_S6_SC_PS7_PNS_15floating_traitsIS7_E6data_tEPKSG_.num_agpr, 0
	.set _ZN9rocsparseL20kernel_calculate_cooILi1024ELi32ELb0E21rocsparse_complex_numIfEiiEEvT4_T3_PKS3_S6_PKT2_21rocsparse_index_base_PKS4_SC_S6_SC_SC_S6_SC_PS7_PNS_15floating_traitsIS7_E6data_tEPKSG_.numbered_sgpr, 36
	.set _ZN9rocsparseL20kernel_calculate_cooILi1024ELi32ELb0E21rocsparse_complex_numIfEiiEEvT4_T3_PKS3_S6_PKT2_21rocsparse_index_base_PKS4_SC_S6_SC_SC_S6_SC_PS7_PNS_15floating_traitsIS7_E6data_tEPKSG_.num_named_barrier, 0
	.set _ZN9rocsparseL20kernel_calculate_cooILi1024ELi32ELb0E21rocsparse_complex_numIfEiiEEvT4_T3_PKS3_S6_PKT2_21rocsparse_index_base_PKS4_SC_S6_SC_SC_S6_SC_PS7_PNS_15floating_traitsIS7_E6data_tEPKSG_.private_seg_size, 0
	.set _ZN9rocsparseL20kernel_calculate_cooILi1024ELi32ELb0E21rocsparse_complex_numIfEiiEEvT4_T3_PKS3_S6_PKT2_21rocsparse_index_base_PKS4_SC_S6_SC_SC_S6_SC_PS7_PNS_15floating_traitsIS7_E6data_tEPKSG_.uses_vcc, 1
	.set _ZN9rocsparseL20kernel_calculate_cooILi1024ELi32ELb0E21rocsparse_complex_numIfEiiEEvT4_T3_PKS3_S6_PKT2_21rocsparse_index_base_PKS4_SC_S6_SC_SC_S6_SC_PS7_PNS_15floating_traitsIS7_E6data_tEPKSG_.uses_flat_scratch, 0
	.set _ZN9rocsparseL20kernel_calculate_cooILi1024ELi32ELb0E21rocsparse_complex_numIfEiiEEvT4_T3_PKS3_S6_PKT2_21rocsparse_index_base_PKS4_SC_S6_SC_SC_S6_SC_PS7_PNS_15floating_traitsIS7_E6data_tEPKSG_.has_dyn_sized_stack, 0
	.set _ZN9rocsparseL20kernel_calculate_cooILi1024ELi32ELb0E21rocsparse_complex_numIfEiiEEvT4_T3_PKS3_S6_PKT2_21rocsparse_index_base_PKS4_SC_S6_SC_SC_S6_SC_PS7_PNS_15floating_traitsIS7_E6data_tEPKSG_.has_recursion, 0
	.set _ZN9rocsparseL20kernel_calculate_cooILi1024ELi32ELb0E21rocsparse_complex_numIfEiiEEvT4_T3_PKS3_S6_PKT2_21rocsparse_index_base_PKS4_SC_S6_SC_SC_S6_SC_PS7_PNS_15floating_traitsIS7_E6data_tEPKSG_.has_indirect_call, 0
	.section	.AMDGPU.csdata,"",@progbits
; Kernel info:
; codeLenInByte = 1352
; TotalNumSgprs: 42
; NumVgprs: 26
; NumAgprs: 0
; TotalNumVgprs: 26
; ScratchSize: 0
; MemoryBound: 0
; FloatMode: 240
; IeeeMode: 1
; LDSByteSize: 0 bytes/workgroup (compile time only)
; SGPRBlocks: 5
; VGPRBlocks: 3
; NumSGPRsForWavesPerEU: 42
; NumVGPRsForWavesPerEU: 26
; AccumOffset: 28
; Occupancy: 8
; WaveLimiterHint : 1
; COMPUTE_PGM_RSRC2:SCRATCH_EN: 0
; COMPUTE_PGM_RSRC2:USER_SGPR: 2
; COMPUTE_PGM_RSRC2:TRAP_HANDLER: 0
; COMPUTE_PGM_RSRC2:TGID_X_EN: 1
; COMPUTE_PGM_RSRC2:TGID_Y_EN: 0
; COMPUTE_PGM_RSRC2:TGID_Z_EN: 0
; COMPUTE_PGM_RSRC2:TIDIG_COMP_CNT: 0
; COMPUTE_PGM_RSRC3_GFX90A:ACCUM_OFFSET: 6
; COMPUTE_PGM_RSRC3_GFX90A:TG_SPLIT: 0
	.section	.text._ZN9rocsparseL20kernel_calculate_cooILi1024ELi64ELb0E21rocsparse_complex_numIfEiiEEvT4_T3_PKS3_S6_PKT2_21rocsparse_index_base_PKS4_SC_S6_SC_SC_S6_SC_PS7_PNS_15floating_traitsIS7_E6data_tEPKSG_,"axG",@progbits,_ZN9rocsparseL20kernel_calculate_cooILi1024ELi64ELb0E21rocsparse_complex_numIfEiiEEvT4_T3_PKS3_S6_PKT2_21rocsparse_index_base_PKS4_SC_S6_SC_SC_S6_SC_PS7_PNS_15floating_traitsIS7_E6data_tEPKSG_,comdat
	.globl	_ZN9rocsparseL20kernel_calculate_cooILi1024ELi64ELb0E21rocsparse_complex_numIfEiiEEvT4_T3_PKS3_S6_PKT2_21rocsparse_index_base_PKS4_SC_S6_SC_SC_S6_SC_PS7_PNS_15floating_traitsIS7_E6data_tEPKSG_ ; -- Begin function _ZN9rocsparseL20kernel_calculate_cooILi1024ELi64ELb0E21rocsparse_complex_numIfEiiEEvT4_T3_PKS3_S6_PKT2_21rocsparse_index_base_PKS4_SC_S6_SC_SC_S6_SC_PS7_PNS_15floating_traitsIS7_E6data_tEPKSG_
	.p2align	8
	.type	_ZN9rocsparseL20kernel_calculate_cooILi1024ELi64ELb0E21rocsparse_complex_numIfEiiEEvT4_T3_PKS3_S6_PKT2_21rocsparse_index_base_PKS4_SC_S6_SC_SC_S6_SC_PS7_PNS_15floating_traitsIS7_E6data_tEPKSG_,@function
_ZN9rocsparseL20kernel_calculate_cooILi1024ELi64ELb0E21rocsparse_complex_numIfEiiEEvT4_T3_PKS3_S6_PKT2_21rocsparse_index_base_PKS4_SC_S6_SC_SC_S6_SC_PS7_PNS_15floating_traitsIS7_E6data_tEPKSG_: ; @_ZN9rocsparseL20kernel_calculate_cooILi1024ELi64ELb0E21rocsparse_complex_numIfEiiEEvT4_T3_PKS3_S6_PKT2_21rocsparse_index_base_PKS4_SC_S6_SC_SC_S6_SC_PS7_PNS_15floating_traitsIS7_E6data_tEPKSG_
; %bb.0:
	s_load_dword s30, s[0:1], 0x4
	v_lshl_or_b32 v0, s2, 16, v0
	s_waitcnt lgkmcnt(0)
	v_cmp_gt_i32_e32 vcc, s30, v0
	s_and_saveexec_b64 s[2:3], vcc
	s_cbranch_execz .LBB53_20
; %bb.1:
	s_load_dwordx8 s[4:11], s[0:1], 0x48
	s_load_dwordx4 s[20:23], s[0:1], 0x8
	s_load_dwordx2 s[2:3], s[0:1], 0x18
	s_load_dwordx8 s[12:19], s[0:1], 0x28
	s_load_dword s31, s[0:1], 0x20
	s_mov_b32 s33, 0
	s_mov_b32 s34, 0xf800000
	v_mov_b32_e32 v12, 0x260
	s_movk_i32 s35, 0x1f8
	s_branch .LBB53_3
.LBB53_2:                               ;   in Loop: Header=BB53_3 Depth=1
	s_or_b64 exec, exec, s[24:25]
	s_add_i32 s33, s33, 1
	s_cmp_lg_u32 s33, 64
	v_add_u32_e32 v0, 0x400, v0
	s_cbranch_scc0 .LBB53_20
.LBB53_3:                               ; =>This Loop Header: Depth=1
                                        ;     Child Loop BB53_7 Depth 2
	v_cmp_gt_i32_e32 vcc, s30, v0
	s_and_saveexec_b64 s[24:25], vcc
	s_cbranch_execz .LBB53_2
; %bb.4:                                ;   in Loop: Header=BB53_3 Depth=1
	v_ashrrev_i32_e32 v1, 31, v0
	v_lshlrev_b64 v[2:3], 2, v[0:1]
	s_waitcnt lgkmcnt(0)
	v_lshl_add_u64 v[4:5], s[22:23], 0, v[2:3]
	global_load_dword v13, v[4:5], off
	v_lshl_add_u64 v[2:3], s[20:21], 0, v[2:3]
	global_load_dword v14, v[2:3], off
	s_waitcnt vmcnt(1)
	v_subrev_u32_e32 v2, s31, v13
	v_ashrrev_i32_e32 v3, 31, v2
	v_lshlrev_b64 v[4:5], 2, v[2:3]
	v_lshl_add_u64 v[2:3], s[14:15], 0, v[4:5]
	global_load_dword v15, v[2:3], off
	s_waitcnt vmcnt(1)
	v_subrev_u32_e32 v2, s31, v14
	v_ashrrev_i32_e32 v3, 31, v2
	v_lshlrev_b64 v[6:7], 2, v[2:3]
	v_lshl_add_u64 v[10:11], s[4:5], 0, v[4:5]
	v_lshl_add_u64 v[4:5], s[18:19], 0, v[4:5]
	;; [unrolled: 1-line block ×3, first 2 shown]
	global_load_dword v9, v[10:11], off
	v_lshl_add_u64 v[6:7], s[12:13], 0, v[6:7]
	global_load_dword v11, v[4:5], off
	global_load_dword v8, v[2:3], off
	;; [unrolled: 1-line block ×3, first 2 shown]
	v_lshl_add_u64 v[2:3], v[0:1], 3, s[2:3]
	global_load_dwordx2 v[2:3], v[2:3], off
	v_mov_b32_e32 v7, 0
	v_mov_b32_e32 v6, v7
	s_waitcnt vmcnt(5)
	v_subrev_u32_e32 v4, s31, v15
	v_ashrrev_i32_e32 v5, 31, v4
	v_lshl_add_u64 v[4:5], v[4:5], 3, s[10:11]
	global_load_dwordx2 v[4:5], v[4:5], off
	s_waitcnt vmcnt(4)
	v_cmp_lt_i32_e64 s[0:1], v11, v9
	s_waitcnt vmcnt(2)
	v_cmp_lt_i32_e32 vcc, v10, v8
	s_and_b64 s[0:1], vcc, s[0:1]
	s_and_saveexec_b64 s[26:27], s[0:1]
	s_cbranch_execz .LBB53_10
; %bb.5:                                ;   in Loop: Header=BB53_3 Depth=1
	v_mov_b32_e32 v6, 0
	v_subrev_u32_e32 v15, s31, v9
	v_subrev_u32_e32 v16, s31, v8
	;; [unrolled: 1-line block ×4, first 2 shown]
	s_mov_b64 s[28:29], 0
	v_mov_b32_e32 v7, v6
	s_branch .LBB53_7
.LBB53_6:                               ;   in Loop: Header=BB53_7 Depth=2
	s_or_b64 exec, exec, s[0:1]
	v_cmp_le_i32_e32 vcc, v17, v18
	s_nop 1
	v_addc_co_u32_e32 v10, vcc, 0, v10, vcc
	v_cmp_ge_i32_e32 vcc, v17, v18
	s_nop 1
	v_addc_co_u32_e32 v8, vcc, 0, v8, vcc
	v_cmp_ge_i32_e32 vcc, v10, v16
	v_cmp_ge_i32_e64 s[0:1], v8, v15
	s_or_b64 s[0:1], vcc, s[0:1]
	s_and_b64 s[0:1], exec, s[0:1]
	s_or_b64 s[28:29], s[0:1], s[28:29]
	s_andn2_b64 exec, exec, s[28:29]
	s_cbranch_execz .LBB53_9
.LBB53_7:                               ;   Parent Loop BB53_3 Depth=1
                                        ; =>  This Inner Loop Header: Depth=2
	v_ashrrev_i32_e32 v11, 31, v10
	v_lshl_add_u64 v[18:19], v[10:11], 2, s[16:17]
	v_ashrrev_i32_e32 v9, 31, v8
	global_load_dword v17, v[18:19], off
	v_lshl_add_u64 v[18:19], v[8:9], 2, s[6:7]
	global_load_dword v18, v[18:19], off
	s_waitcnt vmcnt(0)
	v_cmp_eq_u32_e32 vcc, v17, v18
	s_and_saveexec_b64 s[0:1], vcc
	s_cbranch_execz .LBB53_6
; %bb.8:                                ;   in Loop: Header=BB53_7 Depth=2
	v_lshl_add_u64 v[20:21], v[8:9], 2, s[8:9]
	global_load_dword v20, v[20:21], off
	v_lshl_add_u64 v[22:23], v[10:11], 3, s[10:11]
	global_load_dwordx2 v[22:23], v[22:23], off
	s_waitcnt vmcnt(1)
	v_ashrrev_i32_e32 v21, 31, v20
	v_lshl_add_u64 v[20:21], v[20:21], 3, s[10:11]
	global_load_dwordx2 v[20:21], v[20:21], off
	s_waitcnt vmcnt(1)
	v_xor_b32_e32 v24, 0x80000000, v23
	v_mov_b32_e32 v25, v22
	s_waitcnt vmcnt(0)
	v_pk_fma_f32 v[6:7], v[22:23], v[20:21], v[6:7] op_sel_hi:[1,0,1]
	s_nop 0
	v_pk_fma_f32 v[6:7], v[24:25], v[20:21], v[6:7] op_sel:[0,1,0]
	s_branch .LBB53_6
.LBB53_9:                               ;   in Loop: Header=BB53_3 Depth=1
	s_or_b64 exec, exec, s[28:29]
.LBB53_10:                              ;   in Loop: Header=BB53_3 Depth=1
	s_or_b64 exec, exec, s[26:27]
	s_waitcnt vmcnt(1)
	v_pk_add_f32 v[2:3], v[2:3], v[6:7] neg_lo:[0,1] neg_hi:[0,1]
	v_cmp_gt_i32_e32 vcc, v14, v13
	s_and_saveexec_b64 s[0:1], vcc
	s_cbranch_execz .LBB53_12
; %bb.11:                               ;   in Loop: Header=BB53_3 Depth=1
	s_waitcnt vmcnt(0)
	v_mul_f32_e32 v6, v5, v5
	v_fmac_f32_e32 v6, v4, v4
	v_div_scale_f32 v7, s[26:27], v6, v6, 1.0
	v_rcp_f32_e32 v8, v7
	v_div_scale_f32 v9, vcc, 1.0, v6, 1.0
	v_fma_f32 v10, -v7, v8, 1.0
	v_fmac_f32_e32 v8, v10, v8
	v_mul_f32_e32 v10, v9, v8
	v_fma_f32 v11, -v7, v10, v9
	v_fmac_f32_e32 v10, v11, v8
	v_fma_f32 v7, -v7, v10, v9
	v_div_fmas_f32 v7, v7, v8, v10
	v_xor_b32_e32 v9, 0x80000000, v2
	v_mov_b32_e32 v8, v3
	v_pk_mul_f32 v[8:9], v[4:5], v[8:9] op_sel:[1,0]
	v_div_fixup_f32 v6, v7, v6, 1.0
	v_pk_fma_f32 v[2:3], v[2:3], v[4:5], v[8:9] op_sel_hi:[1,0,1]
	s_nop 0
	v_pk_mul_f32 v[2:3], v[6:7], v[2:3] op_sel_hi:[0,1]
.LBB53_12:                              ;   in Loop: Header=BB53_3 Depth=1
	s_or_b64 exec, exec, s[0:1]
	v_cmp_gt_f32_e32 vcc, 0, v2
                                        ; implicit-def: $vgpr6
	s_waitcnt vmcnt(0)
	s_nop 0
	v_cndmask_b32_e64 v4, v2, -v2, vcc
	v_cmp_gt_f32_e32 vcc, 0, v3
	s_nop 1
	v_cndmask_b32_e64 v5, v3, -v3, vcc
	v_cmp_ngt_f32_e32 vcc, v4, v5
	s_and_saveexec_b64 s[0:1], vcc
	s_xor_b64 s[26:27], exec, s[0:1]
	s_cbranch_execnz .LBB53_15
; %bb.13:                               ;   in Loop: Header=BB53_3 Depth=1
	s_andn2_saveexec_b64 s[26:27], s[26:27]
	s_cbranch_execnz .LBB53_18
.LBB53_14:                              ;   in Loop: Header=BB53_3 Depth=1
	s_or_b64 exec, exec, s[26:27]
	v_cmp_class_f32_e64 s[0:1], v6, s35
	s_and_b64 exec, exec, s[0:1]
	s_cbranch_execz .LBB53_2
	s_branch .LBB53_19
.LBB53_15:                              ;   in Loop: Header=BB53_3 Depth=1
	v_mov_b32_e32 v6, 0
	v_cmp_neq_f32_e32 vcc, 0, v3
	s_and_saveexec_b64 s[28:29], vcc
	s_cbranch_execz .LBB53_17
; %bb.16:                               ;   in Loop: Header=BB53_3 Depth=1
	v_div_scale_f32 v6, s[0:1], v5, v5, v4
	v_rcp_f32_e32 v7, v6
	v_div_scale_f32 v8, vcc, v4, v5, v4
	v_fma_f32 v9, -v6, v7, 1.0
	v_fmac_f32_e32 v7, v9, v7
	v_mul_f32_e32 v9, v8, v7
	v_fma_f32 v10, -v6, v9, v8
	v_fmac_f32_e32 v9, v10, v7
	v_fma_f32 v6, -v6, v9, v8
	v_div_fmas_f32 v6, v6, v7, v9
	v_div_fixup_f32 v4, v6, v5, v4
	v_fma_f32 v4, v4, v4, 1.0
	v_mul_f32_e32 v6, 0x4f800000, v4
	v_cmp_gt_f32_e32 vcc, s34, v4
	s_nop 1
	v_cndmask_b32_e32 v4, v4, v6, vcc
	v_sqrt_f32_e32 v6, v4
	s_nop 0
	v_add_u32_e32 v7, -1, v6
	v_fma_f32 v8, -v7, v6, v4
	v_cmp_ge_f32_e64 s[0:1], 0, v8
	v_add_u32_e32 v8, 1, v6
	s_nop 0
	v_cndmask_b32_e64 v7, v6, v7, s[0:1]
	v_fma_f32 v6, -v8, v6, v4
	v_cmp_lt_f32_e64 s[0:1], 0, v6
	s_nop 1
	v_cndmask_b32_e64 v6, v7, v8, s[0:1]
	v_mul_f32_e32 v7, 0x37800000, v6
	v_cndmask_b32_e32 v6, v6, v7, vcc
	v_cmp_class_f32_e32 vcc, v4, v12
	s_nop 1
	v_cndmask_b32_e32 v4, v6, v4, vcc
	v_mul_f32_e32 v6, v5, v4
.LBB53_17:                              ;   in Loop: Header=BB53_3 Depth=1
	s_or_b64 exec, exec, s[28:29]
                                        ; implicit-def: $vgpr4
                                        ; implicit-def: $vgpr5
	s_andn2_saveexec_b64 s[26:27], s[26:27]
	s_cbranch_execz .LBB53_14
.LBB53_18:                              ;   in Loop: Header=BB53_3 Depth=1
	v_div_scale_f32 v6, s[0:1], v4, v4, v5
	v_rcp_f32_e32 v7, v6
	v_div_scale_f32 v8, vcc, v5, v4, v5
	v_fma_f32 v9, -v6, v7, 1.0
	v_fmac_f32_e32 v7, v9, v7
	v_mul_f32_e32 v9, v8, v7
	v_fma_f32 v10, -v6, v9, v8
	v_fmac_f32_e32 v9, v10, v7
	v_fma_f32 v6, -v6, v9, v8
	v_div_fmas_f32 v6, v6, v7, v9
	v_div_fixup_f32 v5, v6, v4, v5
	v_fma_f32 v5, v5, v5, 1.0
	v_mul_f32_e32 v6, 0x4f800000, v5
	v_cmp_gt_f32_e32 vcc, s34, v5
	s_nop 1
	v_cndmask_b32_e32 v5, v5, v6, vcc
	v_sqrt_f32_e32 v6, v5
	s_nop 0
	v_add_u32_e32 v7, -1, v6
	v_fma_f32 v8, -v7, v6, v5
	v_cmp_ge_f32_e64 s[0:1], 0, v8
	v_add_u32_e32 v8, 1, v6
	s_nop 0
	v_cndmask_b32_e64 v7, v6, v7, s[0:1]
	v_fma_f32 v6, -v8, v6, v5
	v_cmp_lt_f32_e64 s[0:1], 0, v6
	s_nop 1
	v_cndmask_b32_e64 v6, v7, v8, s[0:1]
	v_mul_f32_e32 v7, 0x37800000, v6
	v_cndmask_b32_e32 v6, v6, v7, vcc
	v_cmp_class_f32_e32 vcc, v5, v12
	s_nop 1
	v_cndmask_b32_e32 v5, v6, v5, vcc
	v_mul_f32_e32 v6, v4, v5
	s_or_b64 exec, exec, s[26:27]
	v_cmp_class_f32_e64 s[0:1], v6, s35
	s_and_b64 exec, exec, s[0:1]
	s_cbranch_execz .LBB53_2
.LBB53_19:                              ;   in Loop: Header=BB53_3 Depth=1
	v_lshl_add_u64 v[4:5], v[0:1], 3, s[10:11]
	global_store_dwordx2 v[4:5], v[2:3], off
	s_branch .LBB53_2
.LBB53_20:
	s_endpgm
	.section	.rodata,"a",@progbits
	.p2align	6, 0x0
	.amdhsa_kernel _ZN9rocsparseL20kernel_calculate_cooILi1024ELi64ELb0E21rocsparse_complex_numIfEiiEEvT4_T3_PKS3_S6_PKT2_21rocsparse_index_base_PKS4_SC_S6_SC_SC_S6_SC_PS7_PNS_15floating_traitsIS7_E6data_tEPKSG_
		.amdhsa_group_segment_fixed_size 0
		.amdhsa_private_segment_fixed_size 0
		.amdhsa_kernarg_size 120
		.amdhsa_user_sgpr_count 2
		.amdhsa_user_sgpr_dispatch_ptr 0
		.amdhsa_user_sgpr_queue_ptr 0
		.amdhsa_user_sgpr_kernarg_segment_ptr 1
		.amdhsa_user_sgpr_dispatch_id 0
		.amdhsa_user_sgpr_kernarg_preload_length 0
		.amdhsa_user_sgpr_kernarg_preload_offset 0
		.amdhsa_user_sgpr_private_segment_size 0
		.amdhsa_uses_dynamic_stack 0
		.amdhsa_enable_private_segment 0
		.amdhsa_system_sgpr_workgroup_id_x 1
		.amdhsa_system_sgpr_workgroup_id_y 0
		.amdhsa_system_sgpr_workgroup_id_z 0
		.amdhsa_system_sgpr_workgroup_info 0
		.amdhsa_system_vgpr_workitem_id 0
		.amdhsa_next_free_vgpr 26
		.amdhsa_next_free_sgpr 36
		.amdhsa_accum_offset 28
		.amdhsa_reserve_vcc 1
		.amdhsa_float_round_mode_32 0
		.amdhsa_float_round_mode_16_64 0
		.amdhsa_float_denorm_mode_32 3
		.amdhsa_float_denorm_mode_16_64 3
		.amdhsa_dx10_clamp 1
		.amdhsa_ieee_mode 1
		.amdhsa_fp16_overflow 0
		.amdhsa_tg_split 0
		.amdhsa_exception_fp_ieee_invalid_op 0
		.amdhsa_exception_fp_denorm_src 0
		.amdhsa_exception_fp_ieee_div_zero 0
		.amdhsa_exception_fp_ieee_overflow 0
		.amdhsa_exception_fp_ieee_underflow 0
		.amdhsa_exception_fp_ieee_inexact 0
		.amdhsa_exception_int_div_zero 0
	.end_amdhsa_kernel
	.section	.text._ZN9rocsparseL20kernel_calculate_cooILi1024ELi64ELb0E21rocsparse_complex_numIfEiiEEvT4_T3_PKS3_S6_PKT2_21rocsparse_index_base_PKS4_SC_S6_SC_SC_S6_SC_PS7_PNS_15floating_traitsIS7_E6data_tEPKSG_,"axG",@progbits,_ZN9rocsparseL20kernel_calculate_cooILi1024ELi64ELb0E21rocsparse_complex_numIfEiiEEvT4_T3_PKS3_S6_PKT2_21rocsparse_index_base_PKS4_SC_S6_SC_SC_S6_SC_PS7_PNS_15floating_traitsIS7_E6data_tEPKSG_,comdat
.Lfunc_end53:
	.size	_ZN9rocsparseL20kernel_calculate_cooILi1024ELi64ELb0E21rocsparse_complex_numIfEiiEEvT4_T3_PKS3_S6_PKT2_21rocsparse_index_base_PKS4_SC_S6_SC_SC_S6_SC_PS7_PNS_15floating_traitsIS7_E6data_tEPKSG_, .Lfunc_end53-_ZN9rocsparseL20kernel_calculate_cooILi1024ELi64ELb0E21rocsparse_complex_numIfEiiEEvT4_T3_PKS3_S6_PKT2_21rocsparse_index_base_PKS4_SC_S6_SC_SC_S6_SC_PS7_PNS_15floating_traitsIS7_E6data_tEPKSG_
                                        ; -- End function
	.set _ZN9rocsparseL20kernel_calculate_cooILi1024ELi64ELb0E21rocsparse_complex_numIfEiiEEvT4_T3_PKS3_S6_PKT2_21rocsparse_index_base_PKS4_SC_S6_SC_SC_S6_SC_PS7_PNS_15floating_traitsIS7_E6data_tEPKSG_.num_vgpr, 26
	.set _ZN9rocsparseL20kernel_calculate_cooILi1024ELi64ELb0E21rocsparse_complex_numIfEiiEEvT4_T3_PKS3_S6_PKT2_21rocsparse_index_base_PKS4_SC_S6_SC_SC_S6_SC_PS7_PNS_15floating_traitsIS7_E6data_tEPKSG_.num_agpr, 0
	.set _ZN9rocsparseL20kernel_calculate_cooILi1024ELi64ELb0E21rocsparse_complex_numIfEiiEEvT4_T3_PKS3_S6_PKT2_21rocsparse_index_base_PKS4_SC_S6_SC_SC_S6_SC_PS7_PNS_15floating_traitsIS7_E6data_tEPKSG_.numbered_sgpr, 36
	.set _ZN9rocsparseL20kernel_calculate_cooILi1024ELi64ELb0E21rocsparse_complex_numIfEiiEEvT4_T3_PKS3_S6_PKT2_21rocsparse_index_base_PKS4_SC_S6_SC_SC_S6_SC_PS7_PNS_15floating_traitsIS7_E6data_tEPKSG_.num_named_barrier, 0
	.set _ZN9rocsparseL20kernel_calculate_cooILi1024ELi64ELb0E21rocsparse_complex_numIfEiiEEvT4_T3_PKS3_S6_PKT2_21rocsparse_index_base_PKS4_SC_S6_SC_SC_S6_SC_PS7_PNS_15floating_traitsIS7_E6data_tEPKSG_.private_seg_size, 0
	.set _ZN9rocsparseL20kernel_calculate_cooILi1024ELi64ELb0E21rocsparse_complex_numIfEiiEEvT4_T3_PKS3_S6_PKT2_21rocsparse_index_base_PKS4_SC_S6_SC_SC_S6_SC_PS7_PNS_15floating_traitsIS7_E6data_tEPKSG_.uses_vcc, 1
	.set _ZN9rocsparseL20kernel_calculate_cooILi1024ELi64ELb0E21rocsparse_complex_numIfEiiEEvT4_T3_PKS3_S6_PKT2_21rocsparse_index_base_PKS4_SC_S6_SC_SC_S6_SC_PS7_PNS_15floating_traitsIS7_E6data_tEPKSG_.uses_flat_scratch, 0
	.set _ZN9rocsparseL20kernel_calculate_cooILi1024ELi64ELb0E21rocsparse_complex_numIfEiiEEvT4_T3_PKS3_S6_PKT2_21rocsparse_index_base_PKS4_SC_S6_SC_SC_S6_SC_PS7_PNS_15floating_traitsIS7_E6data_tEPKSG_.has_dyn_sized_stack, 0
	.set _ZN9rocsparseL20kernel_calculate_cooILi1024ELi64ELb0E21rocsparse_complex_numIfEiiEEvT4_T3_PKS3_S6_PKT2_21rocsparse_index_base_PKS4_SC_S6_SC_SC_S6_SC_PS7_PNS_15floating_traitsIS7_E6data_tEPKSG_.has_recursion, 0
	.set _ZN9rocsparseL20kernel_calculate_cooILi1024ELi64ELb0E21rocsparse_complex_numIfEiiEEvT4_T3_PKS3_S6_PKT2_21rocsparse_index_base_PKS4_SC_S6_SC_SC_S6_SC_PS7_PNS_15floating_traitsIS7_E6data_tEPKSG_.has_indirect_call, 0
	.section	.AMDGPU.csdata,"",@progbits
; Kernel info:
; codeLenInByte = 1352
; TotalNumSgprs: 42
; NumVgprs: 26
; NumAgprs: 0
; TotalNumVgprs: 26
; ScratchSize: 0
; MemoryBound: 0
; FloatMode: 240
; IeeeMode: 1
; LDSByteSize: 0 bytes/workgroup (compile time only)
; SGPRBlocks: 5
; VGPRBlocks: 3
; NumSGPRsForWavesPerEU: 42
; NumVGPRsForWavesPerEU: 26
; AccumOffset: 28
; Occupancy: 8
; WaveLimiterHint : 1
; COMPUTE_PGM_RSRC2:SCRATCH_EN: 0
; COMPUTE_PGM_RSRC2:USER_SGPR: 2
; COMPUTE_PGM_RSRC2:TRAP_HANDLER: 0
; COMPUTE_PGM_RSRC2:TGID_X_EN: 1
; COMPUTE_PGM_RSRC2:TGID_Y_EN: 0
; COMPUTE_PGM_RSRC2:TGID_Z_EN: 0
; COMPUTE_PGM_RSRC2:TIDIG_COMP_CNT: 0
; COMPUTE_PGM_RSRC3_GFX90A:ACCUM_OFFSET: 6
; COMPUTE_PGM_RSRC3_GFX90A:TG_SPLIT: 0
	.section	.text._ZN9rocsparseL20kernel_calculate_cooILi1024ELi32ELb1E21rocsparse_complex_numIdEiiEEvT4_T3_PKS3_S6_PKT2_21rocsparse_index_base_PKS4_SC_S6_SC_SC_S6_SC_PS7_PNS_15floating_traitsIS7_E6data_tEPKSG_,"axG",@progbits,_ZN9rocsparseL20kernel_calculate_cooILi1024ELi32ELb1E21rocsparse_complex_numIdEiiEEvT4_T3_PKS3_S6_PKT2_21rocsparse_index_base_PKS4_SC_S6_SC_SC_S6_SC_PS7_PNS_15floating_traitsIS7_E6data_tEPKSG_,comdat
	.globl	_ZN9rocsparseL20kernel_calculate_cooILi1024ELi32ELb1E21rocsparse_complex_numIdEiiEEvT4_T3_PKS3_S6_PKT2_21rocsparse_index_base_PKS4_SC_S6_SC_SC_S6_SC_PS7_PNS_15floating_traitsIS7_E6data_tEPKSG_ ; -- Begin function _ZN9rocsparseL20kernel_calculate_cooILi1024ELi32ELb1E21rocsparse_complex_numIdEiiEEvT4_T3_PKS3_S6_PKT2_21rocsparse_index_base_PKS4_SC_S6_SC_SC_S6_SC_PS7_PNS_15floating_traitsIS7_E6data_tEPKSG_
	.p2align	8
	.type	_ZN9rocsparseL20kernel_calculate_cooILi1024ELi32ELb1E21rocsparse_complex_numIdEiiEEvT4_T3_PKS3_S6_PKT2_21rocsparse_index_base_PKS4_SC_S6_SC_SC_S6_SC_PS7_PNS_15floating_traitsIS7_E6data_tEPKSG_,@function
_ZN9rocsparseL20kernel_calculate_cooILi1024ELi32ELb1E21rocsparse_complex_numIdEiiEEvT4_T3_PKS3_S6_PKT2_21rocsparse_index_base_PKS4_SC_S6_SC_SC_S6_SC_PS7_PNS_15floating_traitsIS7_E6data_tEPKSG_: ; @_ZN9rocsparseL20kernel_calculate_cooILi1024ELi32ELb1E21rocsparse_complex_numIdEiiEEvT4_T3_PKS3_S6_PKT2_21rocsparse_index_base_PKS4_SC_S6_SC_SC_S6_SC_PS7_PNS_15floating_traitsIS7_E6data_tEPKSG_
; %bb.0:
	s_load_dword s33, s[0:1], 0x4
	v_lshl_or_b32 v16, s2, 16, v0
	v_mov_b64_e32 v[14:15], 0
	s_waitcnt lgkmcnt(0)
	v_cmp_gt_i32_e32 vcc, s33, v16
	s_and_saveexec_b64 s[24:25], vcc
	s_cbranch_execz .LBB54_43
; %bb.1:
	s_load_dwordx8 s[4:11], s[0:1], 0x48
	s_load_dwordx4 s[20:23], s[0:1], 0x8
	s_load_dwordx2 s[26:27], s[0:1], 0x18
	s_load_dwordx8 s[12:19], s[0:1], 0x28
	s_load_dword s48, s[0:1], 0x20
	s_mov_b32 s28, 0
	s_mov_b32 s30, 0
	;; [unrolled: 1-line block ×3, first 2 shown]
	v_mov_b64_e32 v[14:15], 0
	s_mov_b32 s49, 0
	s_brev_b32 s29, 1
	s_brev_b32 s31, 8
	v_mov_b32_e32 v1, 0x260
	s_mov_b32 s35, 0x7ff00000
	s_movk_i32 s50, 0x1f8
	v_mov_b32_e32 v26, 0x100
	v_mov_b32_e32 v27, 0xffffff80
	s_branch .LBB54_4
.LBB54_2:                               ;   in Loop: Header=BB54_4 Depth=1
	s_or_b64 exec, exec, s[38:39]
	s_or_b64 vcc, s[2:3], vcc
	v_cndmask_b32_e32 v15, v7, v15, vcc
	v_cndmask_b32_e32 v14, v6, v14, vcc
.LBB54_3:                               ;   in Loop: Header=BB54_4 Depth=1
	s_or_b64 exec, exec, s[36:37]
	s_add_i32 s49, s49, 1
	s_cmp_lg_u32 s49, 64
	v_add_u32_e32 v16, 0x400, v16
	s_cbranch_scc0 .LBB54_43
.LBB54_4:                               ; =>This Loop Header: Depth=1
                                        ;     Child Loop BB54_8 Depth 2
                                        ;     Child Loop BB54_16 Depth 2
	;; [unrolled: 1-line block ×3, first 2 shown]
	v_cmp_gt_i32_e32 vcc, s33, v16
	s_and_saveexec_b64 s[36:37], vcc
	s_cbranch_execz .LBB54_3
; %bb.5:                                ;   in Loop: Header=BB54_4 Depth=1
	v_ashrrev_i32_e32 v17, 31, v16
	v_lshlrev_b64 v[2:3], 2, v[16:17]
	s_waitcnt lgkmcnt(0)
	v_lshl_add_u64 v[4:5], s[22:23], 0, v[2:3]
	global_load_dword v28, v[4:5], off
	v_lshl_add_u64 v[2:3], s[20:21], 0, v[2:3]
	global_load_dword v29, v[2:3], off
	v_mov_b64_e32 v[22:23], 0
	v_mov_b64_e32 v[24:25], 0
	s_waitcnt vmcnt(1)
	v_subrev_u32_e32 v2, s48, v28
	v_ashrrev_i32_e32 v3, 31, v2
	v_lshlrev_b64 v[2:3], 2, v[2:3]
	v_lshl_add_u64 v[4:5], s[14:15], 0, v[2:3]
	global_load_dword v8, v[4:5], off
	s_waitcnt vmcnt(1)
	v_subrev_u32_e32 v4, s48, v29
	v_ashrrev_i32_e32 v5, 31, v4
	v_lshlrev_b64 v[4:5], 2, v[4:5]
	v_lshl_add_u64 v[6:7], s[14:15], 0, v[4:5]
	global_load_dword v19, v[6:7], off
	v_lshl_add_u64 v[6:7], s[4:5], 0, v[2:3]
	v_lshl_add_u64 v[4:5], s[12:13], 0, v[4:5]
	;; [unrolled: 1-line block ×3, first 2 shown]
	global_load_dword v4, v[4:5], off
	s_waitcnt vmcnt(1)
	v_subrev_u32_e32 v30, s48, v19
	global_load_dword v5, v[2:3], off
	v_lshl_add_u64 v[2:3], v[16:17], 4, s[26:27]
	global_load_dwordx4 v[10:13], v[2:3], off
	v_subrev_u32_e32 v2, s48, v8
	global_load_dword v21, v[6:7], off
	v_ashrrev_i32_e32 v3, 31, v2
	v_lshl_add_u64 v[2:3], v[2:3], 4, s[10:11]
	global_load_dwordx4 v[6:9], v[2:3], off
	s_waitcnt vmcnt(4)
	v_cmp_lt_i32_e32 vcc, v4, v19
	v_subrev_u32_e32 v18, s48, v4
	s_waitcnt vmcnt(3)
	v_subrev_u32_e32 v20, s48, v5
	s_waitcnt vmcnt(1)
	v_cmp_lt_i32_e64 s[2:3], v5, v21
	v_subrev_u32_e32 v31, s48, v21
	s_and_b64 s[2:3], vcc, s[2:3]
	s_and_saveexec_b64 s[38:39], s[2:3]
	s_cbranch_execz .LBB54_11
; %bb.6:                                ;   in Loop: Header=BB54_4 Depth=1
	v_mov_b64_e32 v[22:23], 0
	s_mov_b64 s[40:41], 0
	v_mov_b64_e32 v[24:25], 0
	s_branch .LBB54_8
.LBB54_7:                               ;   in Loop: Header=BB54_8 Depth=2
	s_or_b64 exec, exec, s[2:3]
	v_cmp_le_i32_e32 vcc, v2, v3
	s_nop 1
	v_addc_co_u32_e32 v18, vcc, 0, v18, vcc
	v_cmp_ge_i32_e32 vcc, v2, v3
	s_nop 1
	v_addc_co_u32_e32 v20, vcc, 0, v20, vcc
	v_cmp_ge_i32_e32 vcc, v18, v30
	v_cmp_ge_i32_e64 s[2:3], v20, v31
	s_or_b64 s[2:3], vcc, s[2:3]
	s_and_b64 s[2:3], exec, s[2:3]
	s_or_b64 s[40:41], s[2:3], s[40:41]
	s_andn2_b64 exec, exec, s[40:41]
	s_cbranch_execz .LBB54_10
.LBB54_8:                               ;   Parent Loop BB54_4 Depth=1
                                        ; =>  This Inner Loop Header: Depth=2
	v_ashrrev_i32_e32 v19, 31, v18
	v_ashrrev_i32_e32 v21, 31, v20
	v_lshl_add_u64 v[2:3], v[18:19], 2, s[16:17]
	v_lshl_add_u64 v[4:5], v[20:21], 2, s[6:7]
	global_load_dword v2, v[2:3], off
	s_nop 0
	global_load_dword v3, v[4:5], off
	s_waitcnt vmcnt(0)
	v_cmp_eq_u32_e32 vcc, v2, v3
	s_and_saveexec_b64 s[2:3], vcc
	s_cbranch_execz .LBB54_7
; %bb.9:                                ;   in Loop: Header=BB54_8 Depth=2
	v_lshl_add_u64 v[4:5], v[20:21], 2, s[8:9]
	global_load_dword v4, v[4:5], off
	v_lshl_add_u64 v[32:33], v[18:19], 4, s[10:11]
	global_load_dwordx4 v[32:35], v[32:33], off
	s_waitcnt vmcnt(1)
	v_ashrrev_i32_e32 v5, 31, v4
	v_lshl_add_u64 v[4:5], v[4:5], 4, s[10:11]
	global_load_dwordx4 v[36:39], v[4:5], off
	s_waitcnt vmcnt(0)
	v_fmac_f64_e32 v[22:23], v[32:33], v[36:37]
	v_fmac_f64_e32 v[24:25], v[34:35], v[36:37]
	v_fma_f64 v[22:23], -v[34:35], v[38:39], v[22:23]
	v_fmac_f64_e32 v[24:25], v[32:33], v[38:39]
	s_branch .LBB54_7
.LBB54_10:                              ;   in Loop: Header=BB54_4 Depth=1
	s_or_b64 exec, exec, s[40:41]
.LBB54_11:                              ;   in Loop: Header=BB54_4 Depth=1
	s_or_b64 exec, exec, s[38:39]
	v_add_f64 v[2:3], v[10:11], -v[22:23]
	v_add_f64 v[4:5], v[12:13], -v[24:25]
	v_cmp_gt_i32_e32 vcc, v29, v28
	s_and_saveexec_b64 s[2:3], vcc
	s_cbranch_execz .LBB54_13
; %bb.12:                               ;   in Loop: Header=BB54_4 Depth=1
	s_waitcnt vmcnt(0)
	v_mul_f64 v[32:33], v[8:9], v[8:9]
	v_fmac_f64_e32 v[32:33], v[6:7], v[6:7]
	v_div_scale_f64 v[34:35], s[38:39], v[32:33], v[32:33], 1.0
	v_rcp_f64_e32 v[36:37], v[34:35]
	v_div_scale_f64 v[38:39], vcc, 1.0, v[32:33], 1.0
	v_fma_f64 v[40:41], -v[34:35], v[36:37], 1.0
	v_fmac_f64_e32 v[36:37], v[36:37], v[40:41]
	v_fma_f64 v[40:41], -v[34:35], v[36:37], 1.0
	v_fmac_f64_e32 v[36:37], v[36:37], v[40:41]
	v_mul_f64 v[40:41], v[38:39], v[36:37]
	v_fma_f64 v[34:35], -v[34:35], v[40:41], v[38:39]
	v_div_fmas_f64 v[34:35], v[34:35], v[36:37], v[40:41]
	v_div_fixup_f64 v[32:33], v[34:35], v[32:33], 1.0
	v_mul_f64 v[34:35], v[8:9], v[4:5]
	v_fmac_f64_e32 v[34:35], v[2:3], v[6:7]
	v_mul_f64 v[2:3], v[8:9], -v[2:3]
	v_mul_f64 v[34:35], v[32:33], v[34:35]
	v_fmac_f64_e32 v[2:3], v[4:5], v[6:7]
	v_mul_f64 v[4:5], v[32:33], v[2:3]
	v_mov_b64_e32 v[2:3], v[34:35]
.LBB54_13:                              ;   in Loop: Header=BB54_4 Depth=1
	s_or_b64 exec, exec, s[2:3]
	v_add_f64 v[10:11], v[22:23], -v[10:11]
	v_add_f64 v[12:13], v[24:25], -v[12:13]
	v_cmp_lt_i32_e32 vcc, v20, v31
	s_and_saveexec_b64 s[2:3], vcc
	s_cbranch_execz .LBB54_21
; %bb.14:                               ;   in Loop: Header=BB54_4 Depth=1
	v_ashrrev_i32_e32 v21, 31, v20
	v_lshl_add_u64 v[22:23], v[20:21], 2, s[6:7]
	s_mov_b64 s[40:41], 0
                                        ; implicit-def: $sgpr38_sgpr39
                                        ; implicit-def: $sgpr44_sgpr45
                                        ; implicit-def: $sgpr42_sgpr43
	s_branch .LBB54_16
.LBB54_15:                              ;   in Loop: Header=BB54_16 Depth=2
	s_or_b64 exec, exec, s[46:47]
	s_and_b64 s[46:47], exec, s[44:45]
	s_or_b64 s[40:41], s[46:47], s[40:41]
	s_andn2_b64 s[38:39], s[38:39], exec
	s_and_b64 s[46:47], s[42:43], exec
	s_or_b64 s[38:39], s[38:39], s[46:47]
	s_andn2_b64 exec, exec, s[40:41]
	s_cbranch_execz .LBB54_18
.LBB54_16:                              ;   Parent Loop BB54_4 Depth=1
                                        ; =>  This Inner Loop Header: Depth=2
	global_load_dword v19, v[22:23], off
	v_mov_b64_e32 v[24:25], v[20:21]
	s_or_b64 s[42:43], s[42:43], exec
	s_or_b64 s[44:45], s[44:45], exec
                                        ; implicit-def: $vgpr20_vgpr21
	s_waitcnt vmcnt(0)
	v_cmp_ne_u32_e32 vcc, v19, v29
	s_and_saveexec_b64 s[46:47], vcc
	s_cbranch_execz .LBB54_15
; %bb.17:                               ;   in Loop: Header=BB54_16 Depth=2
	v_lshl_add_u64 v[20:21], v[24:25], 0, 1
	v_cmp_ge_i32_e32 vcc, v20, v31
	s_andn2_b64 s[44:45], s[44:45], exec
	s_and_b64 s[52:53], vcc, exec
	v_lshl_add_u64 v[22:23], v[22:23], 0, 4
	s_andn2_b64 s[42:43], s[42:43], exec
	s_or_b64 s[44:45], s[44:45], s[52:53]
	s_branch .LBB54_15
.LBB54_18:                              ;   in Loop: Header=BB54_4 Depth=1
	s_or_b64 exec, exec, s[40:41]
	s_and_saveexec_b64 s[40:41], s[38:39]
	s_xor_b64 s[38:39], exec, s[40:41]
	s_cbranch_execz .LBB54_20
; %bb.19:                               ;   in Loop: Header=BB54_4 Depth=1
	v_lshl_add_u64 v[20:21], v[24:25], 2, s[8:9]
	global_load_dword v20, v[20:21], off
	s_waitcnt vmcnt(0)
	v_ashrrev_i32_e32 v21, 31, v20
	v_lshl_add_u64 v[20:21], v[20:21], 4, s[10:11]
	global_load_dwordx4 v[20:23], v[20:21], off
	s_waitcnt vmcnt(0)
	v_add_f64 v[10:11], v[10:11], v[20:21]
	v_add_f64 v[12:13], v[12:13], v[22:23]
.LBB54_20:                              ;   in Loop: Header=BB54_4 Depth=1
	s_or_b64 exec, exec, s[38:39]
.LBB54_21:                              ;   in Loop: Header=BB54_4 Depth=1
	s_or_b64 exec, exec, s[2:3]
	v_cmp_lt_i32_e32 vcc, v18, v30
	s_and_saveexec_b64 s[2:3], vcc
	s_cbranch_execz .LBB54_29
; %bb.22:                               ;   in Loop: Header=BB54_4 Depth=1
	v_ashrrev_i32_e32 v19, 31, v18
	v_lshl_add_u64 v[20:21], v[18:19], 2, s[16:17]
	s_mov_b64 s[40:41], 0
                                        ; implicit-def: $sgpr38_sgpr39
                                        ; implicit-def: $sgpr44_sgpr45
                                        ; implicit-def: $sgpr42_sgpr43
	s_branch .LBB54_24
.LBB54_23:                              ;   in Loop: Header=BB54_24 Depth=2
	s_or_b64 exec, exec, s[46:47]
	s_and_b64 s[46:47], exec, s[44:45]
	s_or_b64 s[40:41], s[46:47], s[40:41]
	s_andn2_b64 s[38:39], s[38:39], exec
	s_and_b64 s[46:47], s[42:43], exec
	s_or_b64 s[38:39], s[38:39], s[46:47]
	s_andn2_b64 exec, exec, s[40:41]
	s_cbranch_execz .LBB54_26
.LBB54_24:                              ;   Parent Loop BB54_4 Depth=1
                                        ; =>  This Inner Loop Header: Depth=2
	global_load_dword v24, v[20:21], off
	v_mov_b64_e32 v[22:23], v[18:19]
	s_or_b64 s[42:43], s[42:43], exec
	s_or_b64 s[44:45], s[44:45], exec
                                        ; implicit-def: $vgpr18_vgpr19
	s_waitcnt vmcnt(0)
	v_cmp_ne_u32_e32 vcc, v24, v28
	s_and_saveexec_b64 s[46:47], vcc
	s_cbranch_execz .LBB54_23
; %bb.25:                               ;   in Loop: Header=BB54_24 Depth=2
	v_lshl_add_u64 v[18:19], v[22:23], 0, 1
	v_cmp_ge_i32_e32 vcc, v18, v30
	s_andn2_b64 s[44:45], s[44:45], exec
	s_and_b64 s[52:53], vcc, exec
	v_lshl_add_u64 v[20:21], v[20:21], 0, 4
	s_andn2_b64 s[42:43], s[42:43], exec
	s_or_b64 s[44:45], s[44:45], s[52:53]
	s_branch .LBB54_23
.LBB54_26:                              ;   in Loop: Header=BB54_4 Depth=1
	s_or_b64 exec, exec, s[40:41]
	s_and_saveexec_b64 s[40:41], s[38:39]
	s_xor_b64 s[38:39], exec, s[40:41]
	s_cbranch_execz .LBB54_28
; %bb.27:                               ;   in Loop: Header=BB54_4 Depth=1
	v_lshl_add_u64 v[18:19], v[22:23], 4, s[10:11]
	global_load_dwordx4 v[18:21], v[18:19], off
	s_waitcnt vmcnt(0)
	v_fmac_f64_e32 v[10:11], v[18:19], v[6:7]
	v_fmac_f64_e32 v[12:13], v[20:21], v[6:7]
	v_fma_f64 v[10:11], -v[20:21], v[8:9], v[10:11]
	v_fmac_f64_e32 v[12:13], v[18:19], v[8:9]
.LBB54_28:                              ;   in Loop: Header=BB54_4 Depth=1
	s_or_b64 exec, exec, s[38:39]
.LBB54_29:                              ;   in Loop: Header=BB54_4 Depth=1
	s_or_b64 exec, exec, s[2:3]
	s_waitcnt vmcnt(0)
	v_add_f64 v[6:7], v[6:7], v[10:11]
	v_add_f64 v[8:9], v[8:9], v[12:13]
	v_cmp_eq_u32_e32 vcc, v29, v28
	s_nop 1
	v_cndmask_b32_e32 v12, v12, v8, vcc
	v_cndmask_b32_e32 v8, v10, v6, vcc
	;; [unrolled: 1-line block ×4, first 2 shown]
	v_xor_b32_e32 v9, 0x80000000, v6
	v_cmp_lt_f64_e32 vcc, s[28:29], v[8:9]
	v_mov_b32_e32 v10, v12
	s_nop 0
	v_cndmask_b32_e32 v9, v6, v9, vcc
	v_xor_b32_e32 v6, 0x80000000, v13
	v_cmp_gt_f64_e32 vcc, 0, v[12:13]
	s_nop 1
	v_cndmask_b32_e32 v11, v13, v6, vcc
	v_cmp_ngt_f64_e32 vcc, v[8:9], v[10:11]
                                        ; implicit-def: $vgpr6_vgpr7
	s_and_saveexec_b64 s[2:3], vcc
	s_xor_b64 s[2:3], exec, s[2:3]
	s_cbranch_execz .LBB54_33
; %bb.30:                               ;   in Loop: Header=BB54_4 Depth=1
	v_mov_b64_e32 v[6:7], 0
	v_cmp_neq_f64_e32 vcc, 0, v[12:13]
	s_and_saveexec_b64 s[38:39], vcc
	s_cbranch_execz .LBB54_32
; %bb.31:                               ;   in Loop: Header=BB54_4 Depth=1
	v_div_scale_f64 v[6:7], s[40:41], v[10:11], v[10:11], v[8:9]
	v_rcp_f64_e32 v[12:13], v[6:7]
	v_div_scale_f64 v[18:19], vcc, v[8:9], v[10:11], v[8:9]
	v_fma_f64 v[20:21], -v[6:7], v[12:13], 1.0
	v_fmac_f64_e32 v[12:13], v[12:13], v[20:21]
	v_fma_f64 v[20:21], -v[6:7], v[12:13], 1.0
	v_fmac_f64_e32 v[12:13], v[12:13], v[20:21]
	v_mul_f64 v[20:21], v[18:19], v[12:13]
	v_fma_f64 v[6:7], -v[6:7], v[20:21], v[18:19]
	v_div_fmas_f64 v[6:7], v[6:7], v[12:13], v[20:21]
	v_div_fixup_f64 v[6:7], v[6:7], v[10:11], v[8:9]
	v_fma_f64 v[6:7], v[6:7], v[6:7], 1.0
	v_cmp_gt_f64_e32 vcc, s[30:31], v[6:7]
	s_nop 1
	v_cndmask_b32_e32 v8, 0, v26, vcc
	v_ldexp_f64 v[6:7], v[6:7], v8
	v_rsq_f64_e32 v[8:9], v[6:7]
	s_nop 0
	v_mul_f64 v[12:13], v[6:7], v[8:9]
	v_mul_f64 v[8:9], v[8:9], 0.5
	v_fma_f64 v[18:19], -v[8:9], v[12:13], 0.5
	v_fmac_f64_e32 v[12:13], v[12:13], v[18:19]
	v_fma_f64 v[20:21], -v[12:13], v[12:13], v[6:7]
	v_fmac_f64_e32 v[8:9], v[8:9], v[18:19]
	v_fmac_f64_e32 v[12:13], v[20:21], v[8:9]
	v_fma_f64 v[18:19], -v[12:13], v[12:13], v[6:7]
	v_fmac_f64_e32 v[12:13], v[18:19], v[8:9]
	v_cndmask_b32_e32 v8, 0, v27, vcc
	v_ldexp_f64 v[8:9], v[12:13], v8
	v_cmp_class_f64_e32 vcc, v[6:7], v1
	s_nop 1
	v_cndmask_b32_e32 v7, v9, v7, vcc
	v_cndmask_b32_e32 v6, v8, v6, vcc
	v_mul_f64 v[6:7], v[10:11], v[6:7]
.LBB54_32:                              ;   in Loop: Header=BB54_4 Depth=1
	s_or_b64 exec, exec, s[38:39]
                                        ; implicit-def: $vgpr8_vgpr9
                                        ; implicit-def: $vgpr10_vgpr11
.LBB54_33:                              ;   in Loop: Header=BB54_4 Depth=1
	s_andn2_saveexec_b64 s[2:3], s[2:3]
	s_cbranch_execz .LBB54_35
; %bb.34:                               ;   in Loop: Header=BB54_4 Depth=1
	v_div_scale_f64 v[6:7], s[38:39], v[8:9], v[8:9], v[10:11]
	v_rcp_f64_e32 v[12:13], v[6:7]
	v_div_scale_f64 v[18:19], vcc, v[10:11], v[8:9], v[10:11]
	v_fma_f64 v[20:21], -v[6:7], v[12:13], 1.0
	v_fmac_f64_e32 v[12:13], v[12:13], v[20:21]
	v_fma_f64 v[20:21], -v[6:7], v[12:13], 1.0
	v_fmac_f64_e32 v[12:13], v[12:13], v[20:21]
	v_mul_f64 v[20:21], v[18:19], v[12:13]
	v_fma_f64 v[6:7], -v[6:7], v[20:21], v[18:19]
	v_div_fmas_f64 v[6:7], v[6:7], v[12:13], v[20:21]
	v_div_fixup_f64 v[6:7], v[6:7], v[8:9], v[10:11]
	v_fma_f64 v[6:7], v[6:7], v[6:7], 1.0
	v_cmp_gt_f64_e32 vcc, s[30:31], v[6:7]
	s_nop 1
	v_cndmask_b32_e32 v10, 0, v26, vcc
	v_ldexp_f64 v[6:7], v[6:7], v10
	v_rsq_f64_e32 v[10:11], v[6:7]
	s_nop 0
	v_mul_f64 v[12:13], v[6:7], v[10:11]
	v_mul_f64 v[10:11], v[10:11], 0.5
	v_fma_f64 v[18:19], -v[10:11], v[12:13], 0.5
	v_fmac_f64_e32 v[12:13], v[12:13], v[18:19]
	v_fma_f64 v[20:21], -v[12:13], v[12:13], v[6:7]
	v_fmac_f64_e32 v[10:11], v[10:11], v[18:19]
	v_fmac_f64_e32 v[12:13], v[20:21], v[10:11]
	v_fma_f64 v[18:19], -v[12:13], v[12:13], v[6:7]
	v_fmac_f64_e32 v[12:13], v[18:19], v[10:11]
	v_cndmask_b32_e32 v10, 0, v27, vcc
	v_ldexp_f64 v[10:11], v[12:13], v10
	v_cmp_class_f64_e32 vcc, v[6:7], v1
	s_nop 1
	v_cndmask_b32_e32 v7, v11, v7, vcc
	v_cndmask_b32_e32 v6, v10, v6, vcc
	v_mul_f64 v[6:7], v[8:9], v[6:7]
.LBB54_35:                              ;   in Loop: Header=BB54_4 Depth=1
	s_or_b64 exec, exec, s[2:3]
	v_xor_b32_e32 v8, 0x80000000, v3
	v_cmp_gt_f64_e32 vcc, 0, v[2:3]
	v_xor_b32_e32 v10, 0x80000000, v5
                                        ; implicit-def: $vgpr12_vgpr13
	s_nop 0
	v_cndmask_b32_e32 v9, v3, v8, vcc
	v_cmp_gt_f64_e32 vcc, 0, v[4:5]
	v_mov_b32_e32 v8, v2
	s_nop 0
	v_cndmask_b32_e32 v11, v5, v10, vcc
	v_mov_b32_e32 v10, v4
	v_cmp_ngt_f64_e32 vcc, v[8:9], v[10:11]
	s_and_saveexec_b64 s[2:3], vcc
	s_xor_b64 s[2:3], exec, s[2:3]
	s_cbranch_execz .LBB54_39
; %bb.36:                               ;   in Loop: Header=BB54_4 Depth=1
	v_mov_b64_e32 v[12:13], 0
	v_cmp_neq_f64_e32 vcc, 0, v[4:5]
	s_and_saveexec_b64 s[38:39], vcc
	s_cbranch_execz .LBB54_38
; %bb.37:                               ;   in Loop: Header=BB54_4 Depth=1
	v_div_scale_f64 v[12:13], s[40:41], v[10:11], v[10:11], v[8:9]
	v_rcp_f64_e32 v[18:19], v[12:13]
	v_div_scale_f64 v[20:21], vcc, v[8:9], v[10:11], v[8:9]
	v_fma_f64 v[22:23], -v[12:13], v[18:19], 1.0
	v_fmac_f64_e32 v[18:19], v[18:19], v[22:23]
	v_fma_f64 v[22:23], -v[12:13], v[18:19], 1.0
	v_fmac_f64_e32 v[18:19], v[18:19], v[22:23]
	v_mul_f64 v[22:23], v[20:21], v[18:19]
	v_fma_f64 v[12:13], -v[12:13], v[22:23], v[20:21]
	v_div_fmas_f64 v[12:13], v[12:13], v[18:19], v[22:23]
	v_div_fixup_f64 v[8:9], v[12:13], v[10:11], v[8:9]
	v_fma_f64 v[8:9], v[8:9], v[8:9], 1.0
	v_cmp_gt_f64_e32 vcc, s[30:31], v[8:9]
	s_nop 1
	v_cndmask_b32_e32 v12, 0, v26, vcc
	v_ldexp_f64 v[8:9], v[8:9], v12
	v_rsq_f64_e32 v[12:13], v[8:9]
	s_nop 0
	v_mul_f64 v[18:19], v[8:9], v[12:13]
	v_mul_f64 v[12:13], v[12:13], 0.5
	v_fma_f64 v[20:21], -v[12:13], v[18:19], 0.5
	v_fmac_f64_e32 v[18:19], v[18:19], v[20:21]
	v_fma_f64 v[22:23], -v[18:19], v[18:19], v[8:9]
	v_fmac_f64_e32 v[12:13], v[12:13], v[20:21]
	v_fmac_f64_e32 v[18:19], v[22:23], v[12:13]
	v_fma_f64 v[20:21], -v[18:19], v[18:19], v[8:9]
	v_fmac_f64_e32 v[18:19], v[20:21], v[12:13]
	v_cndmask_b32_e32 v12, 0, v27, vcc
	v_ldexp_f64 v[12:13], v[18:19], v12
	v_cmp_class_f64_e32 vcc, v[8:9], v1
	s_nop 1
	v_cndmask_b32_e32 v9, v13, v9, vcc
	v_cndmask_b32_e32 v8, v12, v8, vcc
	v_mul_f64 v[12:13], v[10:11], v[8:9]
.LBB54_38:                              ;   in Loop: Header=BB54_4 Depth=1
	s_or_b64 exec, exec, s[38:39]
                                        ; implicit-def: $vgpr8_vgpr9
                                        ; implicit-def: $vgpr10_vgpr11
.LBB54_39:                              ;   in Loop: Header=BB54_4 Depth=1
	s_andn2_saveexec_b64 s[2:3], s[2:3]
	s_cbranch_execz .LBB54_41
; %bb.40:                               ;   in Loop: Header=BB54_4 Depth=1
	v_div_scale_f64 v[12:13], s[38:39], v[8:9], v[8:9], v[10:11]
	v_rcp_f64_e32 v[18:19], v[12:13]
	v_div_scale_f64 v[20:21], vcc, v[10:11], v[8:9], v[10:11]
	v_fma_f64 v[22:23], -v[12:13], v[18:19], 1.0
	v_fmac_f64_e32 v[18:19], v[18:19], v[22:23]
	v_fma_f64 v[22:23], -v[12:13], v[18:19], 1.0
	v_fmac_f64_e32 v[18:19], v[18:19], v[22:23]
	v_mul_f64 v[22:23], v[20:21], v[18:19]
	v_fma_f64 v[12:13], -v[12:13], v[22:23], v[20:21]
	v_div_fmas_f64 v[12:13], v[12:13], v[18:19], v[22:23]
	v_div_fixup_f64 v[10:11], v[12:13], v[8:9], v[10:11]
	v_fma_f64 v[10:11], v[10:11], v[10:11], 1.0
	v_cmp_gt_f64_e32 vcc, s[30:31], v[10:11]
	s_nop 1
	v_cndmask_b32_e32 v12, 0, v26, vcc
	v_ldexp_f64 v[10:11], v[10:11], v12
	v_rsq_f64_e32 v[12:13], v[10:11]
	s_nop 0
	v_mul_f64 v[18:19], v[10:11], v[12:13]
	v_mul_f64 v[12:13], v[12:13], 0.5
	v_fma_f64 v[20:21], -v[12:13], v[18:19], 0.5
	v_fmac_f64_e32 v[18:19], v[18:19], v[20:21]
	v_fma_f64 v[22:23], -v[18:19], v[18:19], v[10:11]
	v_fmac_f64_e32 v[12:13], v[12:13], v[20:21]
	v_fmac_f64_e32 v[18:19], v[22:23], v[12:13]
	v_fma_f64 v[20:21], -v[18:19], v[18:19], v[10:11]
	v_fmac_f64_e32 v[18:19], v[20:21], v[12:13]
	v_cndmask_b32_e32 v12, 0, v27, vcc
	v_ldexp_f64 v[12:13], v[18:19], v12
	v_cmp_class_f64_e32 vcc, v[10:11], v1
	s_nop 1
	v_cndmask_b32_e32 v11, v13, v11, vcc
	v_cndmask_b32_e32 v10, v12, v10, vcc
	v_mul_f64 v[12:13], v[8:9], v[10:11]
.LBB54_41:                              ;   in Loop: Header=BB54_4 Depth=1
	s_or_b64 exec, exec, s[2:3]
	v_cmp_nlg_f64_e64 s[2:3], |v[6:7]|, s[34:35]
	v_cmp_gt_f64_e32 vcc, v[14:15], v[6:7]
	v_cmp_class_f64_e64 s[40:41], v[12:13], s50
	s_and_saveexec_b64 s[38:39], s[40:41]
	s_cbranch_execz .LBB54_2
; %bb.42:                               ;   in Loop: Header=BB54_4 Depth=1
	v_lshl_add_u64 v[8:9], v[16:17], 4, s[10:11]
	global_store_dwordx4 v[8:9], v[2:5], off
	s_branch .LBB54_2
.LBB54_43:
	s_or_b64 exec, exec, s[24:25]
	v_mov_b32_dpp v2, v14 row_shr:1 row_mask:0xf bank_mask:0xf
	v_mov_b32_dpp v3, v15 row_shr:1 row_mask:0xf bank_mask:0xf
	v_cmp_lt_f64_e32 vcc, v[14:15], v[2:3]
	v_and_b32_e32 v1, 31, v0
	s_nop 0
	v_cndmask_b32_e32 v3, v15, v3, vcc
	v_cndmask_b32_e32 v2, v14, v2, vcc
	s_nop 0
	v_mov_b32_dpp v5, v3 row_shr:2 row_mask:0xf bank_mask:0xf
	v_mov_b32_dpp v4, v2 row_shr:2 row_mask:0xf bank_mask:0xf
	v_cmp_lt_f64_e32 vcc, v[2:3], v[4:5]
	s_nop 1
	v_cndmask_b32_e32 v3, v3, v5, vcc
	v_cndmask_b32_e32 v2, v2, v4, vcc
	s_nop 0
	v_mov_b32_dpp v5, v3 row_shr:4 row_mask:0xf bank_mask:0xe
	v_mov_b32_dpp v4, v2 row_shr:4 row_mask:0xf bank_mask:0xe
	v_cmp_lt_f64_e32 vcc, v[2:3], v[4:5]
	;; [unrolled: 7-line block ×3, first 2 shown]
	s_nop 1
	v_cndmask_b32_e32 v3, v3, v5, vcc
	v_cndmask_b32_e32 v2, v2, v4, vcc
	v_cmp_eq_u32_e32 vcc, 31, v1
	v_mov_b32_dpp v6, v3 row_bcast:15 row_mask:0xa bank_mask:0xf
	v_mov_b32_dpp v4, v2 row_bcast:15 row_mask:0xa bank_mask:0xf
	s_and_saveexec_b64 s[2:3], vcc
	s_cbranch_execz .LBB54_45
; %bb.44:
	v_mov_b32_e32 v5, v6
	v_lshrrev_b32_e32 v1, 2, v0
	v_cmp_lt_f64_e32 vcc, v[2:3], v[4:5]
	v_and_b32_e32 v1, 0xf8, v1
	s_nop 0
	v_cndmask_b32_e32 v3, v3, v6, vcc
	v_cndmask_b32_e32 v2, v2, v4, vcc
	ds_write_b64 v1, v[2:3]
.LBB54_45:
	s_or_b64 exec, exec, s[2:3]
	v_cmp_gt_u32_e32 vcc, 16, v0
	v_lshlrev_b32_e32 v1, 3, v0
	s_waitcnt lgkmcnt(0)
	s_barrier
	s_and_saveexec_b64 s[2:3], vcc
	s_cbranch_execz .LBB54_47
; %bb.46:
	ds_read2_b64 v[2:5], v1 offset1:16
	s_waitcnt lgkmcnt(0)
	v_cmp_lt_f64_e32 vcc, v[2:3], v[4:5]
	s_nop 1
	v_cndmask_b32_e32 v3, v3, v5, vcc
	v_cndmask_b32_e32 v2, v2, v4, vcc
	ds_write_b64 v1, v[2:3]
.LBB54_47:
	s_or_b64 exec, exec, s[2:3]
	v_cmp_gt_u32_e32 vcc, 8, v0
	s_waitcnt lgkmcnt(0)
	s_barrier
	s_and_saveexec_b64 s[2:3], vcc
	s_cbranch_execz .LBB54_49
; %bb.48:
	ds_read2_b64 v[2:5], v1 offset1:8
	s_waitcnt lgkmcnt(0)
	v_cmp_lt_f64_e32 vcc, v[2:3], v[4:5]
	s_nop 1
	v_cndmask_b32_e32 v3, v3, v5, vcc
	v_cndmask_b32_e32 v2, v2, v4, vcc
	ds_write_b64 v1, v[2:3]
.LBB54_49:
	s_or_b64 exec, exec, s[2:3]
	v_cmp_gt_u32_e32 vcc, 4, v0
	;; [unrolled: 15-line block ×3, first 2 shown]
	s_waitcnt lgkmcnt(0)
	s_barrier
	s_and_saveexec_b64 s[2:3], vcc
	s_cbranch_execz .LBB54_53
; %bb.52:
	ds_read2_b64 v[2:5], v1 offset1:2
	s_waitcnt lgkmcnt(0)
	v_cmp_lt_f64_e32 vcc, v[2:3], v[4:5]
	s_nop 1
	v_cndmask_b32_e32 v3, v3, v5, vcc
	v_cndmask_b32_e32 v2, v2, v4, vcc
	ds_write_b64 v1, v[2:3]
.LBB54_53:
	s_or_b64 exec, exec, s[2:3]
	v_cmp_eq_u32_e32 vcc, 0, v0
	s_waitcnt lgkmcnt(0)
	s_barrier
	s_and_saveexec_b64 s[4:5], vcc
	s_cbranch_execz .LBB54_55
; %bb.54:
	v_mov_b32_e32 v4, 0
	ds_read_b128 v[0:3], v4
	s_waitcnt lgkmcnt(0)
	v_cmp_lt_f64_e64 s[2:3], v[0:1], v[2:3]
	s_nop 1
	v_cndmask_b32_e64 v1, v1, v3, s[2:3]
	v_cndmask_b32_e64 v0, v0, v2, s[2:3]
	ds_write_b64 v4, v[0:1]
.LBB54_55:
	s_or_b64 exec, exec, s[4:5]
	s_waitcnt lgkmcnt(0)
	s_barrier
	s_and_saveexec_b64 s[2:3], vcc
	s_cbranch_execz .LBB54_58
; %bb.56:
	v_mbcnt_lo_u32_b32 v0, exec_lo, 0
	v_mbcnt_hi_u32_b32 v0, exec_hi, v0
	v_cmp_eq_u32_e32 vcc, 0, v0
	s_and_b64 exec, exec, vcc
	s_cbranch_execz .LBB54_58
; %bb.57:
	s_load_dwordx4 s[4:7], s[0:1], 0x68
	v_mov_b32_e32 v10, 0
	ds_read_b64 v[0:1], v10
	s_waitcnt lgkmcnt(0)
	s_load_dwordx2 s[0:1], s[6:7], 0x0
	s_waitcnt lgkmcnt(0)
	v_div_scale_f64 v[2:3], s[2:3], s[0:1], s[0:1], v[0:1]
	v_rcp_f64_e32 v[4:5], v[2:3]
	v_div_scale_f64 v[6:7], vcc, v[0:1], s[0:1], v[0:1]
	v_fma_f64 v[8:9], -v[2:3], v[4:5], 1.0
	v_fmac_f64_e32 v[4:5], v[4:5], v[8:9]
	v_fma_f64 v[8:9], -v[2:3], v[4:5], 1.0
	v_fmac_f64_e32 v[4:5], v[4:5], v[8:9]
	v_mul_f64 v[8:9], v[6:7], v[4:5]
	v_fma_f64 v[2:3], -v[2:3], v[8:9], v[6:7]
	v_div_fmas_f64 v[2:3], v[2:3], v[4:5], v[8:9]
	v_div_fixup_f64 v[0:1], v[2:3], s[0:1], v[0:1]
	global_atomic_max_f64 v10, v[0:1], s[4:5]
.LBB54_58:
	s_endpgm
	.section	.rodata,"a",@progbits
	.p2align	6, 0x0
	.amdhsa_kernel _ZN9rocsparseL20kernel_calculate_cooILi1024ELi32ELb1E21rocsparse_complex_numIdEiiEEvT4_T3_PKS3_S6_PKT2_21rocsparse_index_base_PKS4_SC_S6_SC_SC_S6_SC_PS7_PNS_15floating_traitsIS7_E6data_tEPKSG_
		.amdhsa_group_segment_fixed_size 256
		.amdhsa_private_segment_fixed_size 0
		.amdhsa_kernarg_size 120
		.amdhsa_user_sgpr_count 2
		.amdhsa_user_sgpr_dispatch_ptr 0
		.amdhsa_user_sgpr_queue_ptr 0
		.amdhsa_user_sgpr_kernarg_segment_ptr 1
		.amdhsa_user_sgpr_dispatch_id 0
		.amdhsa_user_sgpr_kernarg_preload_length 0
		.amdhsa_user_sgpr_kernarg_preload_offset 0
		.amdhsa_user_sgpr_private_segment_size 0
		.amdhsa_uses_dynamic_stack 0
		.amdhsa_enable_private_segment 0
		.amdhsa_system_sgpr_workgroup_id_x 1
		.amdhsa_system_sgpr_workgroup_id_y 0
		.amdhsa_system_sgpr_workgroup_id_z 0
		.amdhsa_system_sgpr_workgroup_info 0
		.amdhsa_system_vgpr_workitem_id 0
		.amdhsa_next_free_vgpr 42
		.amdhsa_next_free_sgpr 54
		.amdhsa_accum_offset 44
		.amdhsa_reserve_vcc 1
		.amdhsa_float_round_mode_32 0
		.amdhsa_float_round_mode_16_64 0
		.amdhsa_float_denorm_mode_32 3
		.amdhsa_float_denorm_mode_16_64 3
		.amdhsa_dx10_clamp 1
		.amdhsa_ieee_mode 1
		.amdhsa_fp16_overflow 0
		.amdhsa_tg_split 0
		.amdhsa_exception_fp_ieee_invalid_op 0
		.amdhsa_exception_fp_denorm_src 0
		.amdhsa_exception_fp_ieee_div_zero 0
		.amdhsa_exception_fp_ieee_overflow 0
		.amdhsa_exception_fp_ieee_underflow 0
		.amdhsa_exception_fp_ieee_inexact 0
		.amdhsa_exception_int_div_zero 0
	.end_amdhsa_kernel
	.section	.text._ZN9rocsparseL20kernel_calculate_cooILi1024ELi32ELb1E21rocsparse_complex_numIdEiiEEvT4_T3_PKS3_S6_PKT2_21rocsparse_index_base_PKS4_SC_S6_SC_SC_S6_SC_PS7_PNS_15floating_traitsIS7_E6data_tEPKSG_,"axG",@progbits,_ZN9rocsparseL20kernel_calculate_cooILi1024ELi32ELb1E21rocsparse_complex_numIdEiiEEvT4_T3_PKS3_S6_PKT2_21rocsparse_index_base_PKS4_SC_S6_SC_SC_S6_SC_PS7_PNS_15floating_traitsIS7_E6data_tEPKSG_,comdat
.Lfunc_end54:
	.size	_ZN9rocsparseL20kernel_calculate_cooILi1024ELi32ELb1E21rocsparse_complex_numIdEiiEEvT4_T3_PKS3_S6_PKT2_21rocsparse_index_base_PKS4_SC_S6_SC_SC_S6_SC_PS7_PNS_15floating_traitsIS7_E6data_tEPKSG_, .Lfunc_end54-_ZN9rocsparseL20kernel_calculate_cooILi1024ELi32ELb1E21rocsparse_complex_numIdEiiEEvT4_T3_PKS3_S6_PKT2_21rocsparse_index_base_PKS4_SC_S6_SC_SC_S6_SC_PS7_PNS_15floating_traitsIS7_E6data_tEPKSG_
                                        ; -- End function
	.set _ZN9rocsparseL20kernel_calculate_cooILi1024ELi32ELb1E21rocsparse_complex_numIdEiiEEvT4_T3_PKS3_S6_PKT2_21rocsparse_index_base_PKS4_SC_S6_SC_SC_S6_SC_PS7_PNS_15floating_traitsIS7_E6data_tEPKSG_.num_vgpr, 42
	.set _ZN9rocsparseL20kernel_calculate_cooILi1024ELi32ELb1E21rocsparse_complex_numIdEiiEEvT4_T3_PKS3_S6_PKT2_21rocsparse_index_base_PKS4_SC_S6_SC_SC_S6_SC_PS7_PNS_15floating_traitsIS7_E6data_tEPKSG_.num_agpr, 0
	.set _ZN9rocsparseL20kernel_calculate_cooILi1024ELi32ELb1E21rocsparse_complex_numIdEiiEEvT4_T3_PKS3_S6_PKT2_21rocsparse_index_base_PKS4_SC_S6_SC_SC_S6_SC_PS7_PNS_15floating_traitsIS7_E6data_tEPKSG_.numbered_sgpr, 54
	.set _ZN9rocsparseL20kernel_calculate_cooILi1024ELi32ELb1E21rocsparse_complex_numIdEiiEEvT4_T3_PKS3_S6_PKT2_21rocsparse_index_base_PKS4_SC_S6_SC_SC_S6_SC_PS7_PNS_15floating_traitsIS7_E6data_tEPKSG_.num_named_barrier, 0
	.set _ZN9rocsparseL20kernel_calculate_cooILi1024ELi32ELb1E21rocsparse_complex_numIdEiiEEvT4_T3_PKS3_S6_PKT2_21rocsparse_index_base_PKS4_SC_S6_SC_SC_S6_SC_PS7_PNS_15floating_traitsIS7_E6data_tEPKSG_.private_seg_size, 0
	.set _ZN9rocsparseL20kernel_calculate_cooILi1024ELi32ELb1E21rocsparse_complex_numIdEiiEEvT4_T3_PKS3_S6_PKT2_21rocsparse_index_base_PKS4_SC_S6_SC_SC_S6_SC_PS7_PNS_15floating_traitsIS7_E6data_tEPKSG_.uses_vcc, 1
	.set _ZN9rocsparseL20kernel_calculate_cooILi1024ELi32ELb1E21rocsparse_complex_numIdEiiEEvT4_T3_PKS3_S6_PKT2_21rocsparse_index_base_PKS4_SC_S6_SC_SC_S6_SC_PS7_PNS_15floating_traitsIS7_E6data_tEPKSG_.uses_flat_scratch, 0
	.set _ZN9rocsparseL20kernel_calculate_cooILi1024ELi32ELb1E21rocsparse_complex_numIdEiiEEvT4_T3_PKS3_S6_PKT2_21rocsparse_index_base_PKS4_SC_S6_SC_SC_S6_SC_PS7_PNS_15floating_traitsIS7_E6data_tEPKSG_.has_dyn_sized_stack, 0
	.set _ZN9rocsparseL20kernel_calculate_cooILi1024ELi32ELb1E21rocsparse_complex_numIdEiiEEvT4_T3_PKS3_S6_PKT2_21rocsparse_index_base_PKS4_SC_S6_SC_SC_S6_SC_PS7_PNS_15floating_traitsIS7_E6data_tEPKSG_.has_recursion, 0
	.set _ZN9rocsparseL20kernel_calculate_cooILi1024ELi32ELb1E21rocsparse_complex_numIdEiiEEvT4_T3_PKS3_S6_PKT2_21rocsparse_index_base_PKS4_SC_S6_SC_SC_S6_SC_PS7_PNS_15floating_traitsIS7_E6data_tEPKSG_.has_indirect_call, 0
	.section	.AMDGPU.csdata,"",@progbits
; Kernel info:
; codeLenInByte = 3112
; TotalNumSgprs: 60
; NumVgprs: 42
; NumAgprs: 0
; TotalNumVgprs: 42
; ScratchSize: 0
; MemoryBound: 1
; FloatMode: 240
; IeeeMode: 1
; LDSByteSize: 256 bytes/workgroup (compile time only)
; SGPRBlocks: 7
; VGPRBlocks: 5
; NumSGPRsForWavesPerEU: 60
; NumVGPRsForWavesPerEU: 42
; AccumOffset: 44
; Occupancy: 8
; WaveLimiterHint : 1
; COMPUTE_PGM_RSRC2:SCRATCH_EN: 0
; COMPUTE_PGM_RSRC2:USER_SGPR: 2
; COMPUTE_PGM_RSRC2:TRAP_HANDLER: 0
; COMPUTE_PGM_RSRC2:TGID_X_EN: 1
; COMPUTE_PGM_RSRC2:TGID_Y_EN: 0
; COMPUTE_PGM_RSRC2:TGID_Z_EN: 0
; COMPUTE_PGM_RSRC2:TIDIG_COMP_CNT: 0
; COMPUTE_PGM_RSRC3_GFX90A:ACCUM_OFFSET: 10
; COMPUTE_PGM_RSRC3_GFX90A:TG_SPLIT: 0
	.section	.text._ZN9rocsparseL20kernel_calculate_cooILi1024ELi64ELb1E21rocsparse_complex_numIdEiiEEvT4_T3_PKS3_S6_PKT2_21rocsparse_index_base_PKS4_SC_S6_SC_SC_S6_SC_PS7_PNS_15floating_traitsIS7_E6data_tEPKSG_,"axG",@progbits,_ZN9rocsparseL20kernel_calculate_cooILi1024ELi64ELb1E21rocsparse_complex_numIdEiiEEvT4_T3_PKS3_S6_PKT2_21rocsparse_index_base_PKS4_SC_S6_SC_SC_S6_SC_PS7_PNS_15floating_traitsIS7_E6data_tEPKSG_,comdat
	.globl	_ZN9rocsparseL20kernel_calculate_cooILi1024ELi64ELb1E21rocsparse_complex_numIdEiiEEvT4_T3_PKS3_S6_PKT2_21rocsparse_index_base_PKS4_SC_S6_SC_SC_S6_SC_PS7_PNS_15floating_traitsIS7_E6data_tEPKSG_ ; -- Begin function _ZN9rocsparseL20kernel_calculate_cooILi1024ELi64ELb1E21rocsparse_complex_numIdEiiEEvT4_T3_PKS3_S6_PKT2_21rocsparse_index_base_PKS4_SC_S6_SC_SC_S6_SC_PS7_PNS_15floating_traitsIS7_E6data_tEPKSG_
	.p2align	8
	.type	_ZN9rocsparseL20kernel_calculate_cooILi1024ELi64ELb1E21rocsparse_complex_numIdEiiEEvT4_T3_PKS3_S6_PKT2_21rocsparse_index_base_PKS4_SC_S6_SC_SC_S6_SC_PS7_PNS_15floating_traitsIS7_E6data_tEPKSG_,@function
_ZN9rocsparseL20kernel_calculate_cooILi1024ELi64ELb1E21rocsparse_complex_numIdEiiEEvT4_T3_PKS3_S6_PKT2_21rocsparse_index_base_PKS4_SC_S6_SC_SC_S6_SC_PS7_PNS_15floating_traitsIS7_E6data_tEPKSG_: ; @_ZN9rocsparseL20kernel_calculate_cooILi1024ELi64ELb1E21rocsparse_complex_numIdEiiEEvT4_T3_PKS3_S6_PKT2_21rocsparse_index_base_PKS4_SC_S6_SC_SC_S6_SC_PS7_PNS_15floating_traitsIS7_E6data_tEPKSG_
; %bb.0:
	s_load_dword s33, s[0:1], 0x4
	v_lshl_or_b32 v16, s2, 16, v0
	v_mov_b64_e32 v[14:15], 0
	s_waitcnt lgkmcnt(0)
	v_cmp_gt_i32_e32 vcc, s33, v16
	s_and_saveexec_b64 s[24:25], vcc
	s_cbranch_execz .LBB55_43
; %bb.1:
	s_load_dwordx8 s[4:11], s[0:1], 0x48
	s_load_dwordx4 s[20:23], s[0:1], 0x8
	s_load_dwordx2 s[26:27], s[0:1], 0x18
	s_load_dwordx8 s[12:19], s[0:1], 0x28
	s_load_dword s48, s[0:1], 0x20
	s_mov_b32 s28, 0
	s_mov_b32 s30, 0
	;; [unrolled: 1-line block ×3, first 2 shown]
	v_mov_b64_e32 v[14:15], 0
	s_mov_b32 s49, 0
	s_brev_b32 s29, 1
	s_brev_b32 s31, 8
	v_mov_b32_e32 v1, 0x260
	s_mov_b32 s35, 0x7ff00000
	s_movk_i32 s50, 0x1f8
	v_mov_b32_e32 v26, 0x100
	v_mov_b32_e32 v27, 0xffffff80
	s_branch .LBB55_4
.LBB55_2:                               ;   in Loop: Header=BB55_4 Depth=1
	s_or_b64 exec, exec, s[38:39]
	s_or_b64 vcc, s[2:3], vcc
	v_cndmask_b32_e32 v15, v7, v15, vcc
	v_cndmask_b32_e32 v14, v6, v14, vcc
.LBB55_3:                               ;   in Loop: Header=BB55_4 Depth=1
	s_or_b64 exec, exec, s[36:37]
	s_add_i32 s49, s49, 1
	s_cmp_lg_u32 s49, 64
	v_add_u32_e32 v16, 0x400, v16
	s_cbranch_scc0 .LBB55_43
.LBB55_4:                               ; =>This Loop Header: Depth=1
                                        ;     Child Loop BB55_8 Depth 2
                                        ;     Child Loop BB55_16 Depth 2
	;; [unrolled: 1-line block ×3, first 2 shown]
	v_cmp_gt_i32_e32 vcc, s33, v16
	s_and_saveexec_b64 s[36:37], vcc
	s_cbranch_execz .LBB55_3
; %bb.5:                                ;   in Loop: Header=BB55_4 Depth=1
	v_ashrrev_i32_e32 v17, 31, v16
	v_lshlrev_b64 v[2:3], 2, v[16:17]
	s_waitcnt lgkmcnt(0)
	v_lshl_add_u64 v[4:5], s[22:23], 0, v[2:3]
	global_load_dword v28, v[4:5], off
	v_lshl_add_u64 v[2:3], s[20:21], 0, v[2:3]
	global_load_dword v29, v[2:3], off
	v_mov_b64_e32 v[22:23], 0
	v_mov_b64_e32 v[24:25], 0
	s_waitcnt vmcnt(1)
	v_subrev_u32_e32 v2, s48, v28
	v_ashrrev_i32_e32 v3, 31, v2
	v_lshlrev_b64 v[2:3], 2, v[2:3]
	v_lshl_add_u64 v[4:5], s[14:15], 0, v[2:3]
	global_load_dword v8, v[4:5], off
	s_waitcnt vmcnt(1)
	v_subrev_u32_e32 v4, s48, v29
	v_ashrrev_i32_e32 v5, 31, v4
	v_lshlrev_b64 v[4:5], 2, v[4:5]
	v_lshl_add_u64 v[6:7], s[14:15], 0, v[4:5]
	global_load_dword v19, v[6:7], off
	v_lshl_add_u64 v[6:7], s[4:5], 0, v[2:3]
	v_lshl_add_u64 v[4:5], s[12:13], 0, v[4:5]
	;; [unrolled: 1-line block ×3, first 2 shown]
	global_load_dword v4, v[4:5], off
	s_waitcnt vmcnt(1)
	v_subrev_u32_e32 v30, s48, v19
	global_load_dword v5, v[2:3], off
	v_lshl_add_u64 v[2:3], v[16:17], 4, s[26:27]
	global_load_dwordx4 v[10:13], v[2:3], off
	v_subrev_u32_e32 v2, s48, v8
	global_load_dword v21, v[6:7], off
	v_ashrrev_i32_e32 v3, 31, v2
	v_lshl_add_u64 v[2:3], v[2:3], 4, s[10:11]
	global_load_dwordx4 v[6:9], v[2:3], off
	s_waitcnt vmcnt(4)
	v_cmp_lt_i32_e32 vcc, v4, v19
	v_subrev_u32_e32 v18, s48, v4
	s_waitcnt vmcnt(3)
	v_subrev_u32_e32 v20, s48, v5
	s_waitcnt vmcnt(1)
	v_cmp_lt_i32_e64 s[2:3], v5, v21
	v_subrev_u32_e32 v31, s48, v21
	s_and_b64 s[2:3], vcc, s[2:3]
	s_and_saveexec_b64 s[38:39], s[2:3]
	s_cbranch_execz .LBB55_11
; %bb.6:                                ;   in Loop: Header=BB55_4 Depth=1
	v_mov_b64_e32 v[22:23], 0
	s_mov_b64 s[40:41], 0
	v_mov_b64_e32 v[24:25], 0
	s_branch .LBB55_8
.LBB55_7:                               ;   in Loop: Header=BB55_8 Depth=2
	s_or_b64 exec, exec, s[2:3]
	v_cmp_le_i32_e32 vcc, v2, v3
	s_nop 1
	v_addc_co_u32_e32 v18, vcc, 0, v18, vcc
	v_cmp_ge_i32_e32 vcc, v2, v3
	s_nop 1
	v_addc_co_u32_e32 v20, vcc, 0, v20, vcc
	v_cmp_ge_i32_e32 vcc, v18, v30
	v_cmp_ge_i32_e64 s[2:3], v20, v31
	s_or_b64 s[2:3], vcc, s[2:3]
	s_and_b64 s[2:3], exec, s[2:3]
	s_or_b64 s[40:41], s[2:3], s[40:41]
	s_andn2_b64 exec, exec, s[40:41]
	s_cbranch_execz .LBB55_10
.LBB55_8:                               ;   Parent Loop BB55_4 Depth=1
                                        ; =>  This Inner Loop Header: Depth=2
	v_ashrrev_i32_e32 v19, 31, v18
	v_ashrrev_i32_e32 v21, 31, v20
	v_lshl_add_u64 v[2:3], v[18:19], 2, s[16:17]
	v_lshl_add_u64 v[4:5], v[20:21], 2, s[6:7]
	global_load_dword v2, v[2:3], off
	s_nop 0
	global_load_dword v3, v[4:5], off
	s_waitcnt vmcnt(0)
	v_cmp_eq_u32_e32 vcc, v2, v3
	s_and_saveexec_b64 s[2:3], vcc
	s_cbranch_execz .LBB55_7
; %bb.9:                                ;   in Loop: Header=BB55_8 Depth=2
	v_lshl_add_u64 v[4:5], v[20:21], 2, s[8:9]
	global_load_dword v4, v[4:5], off
	v_lshl_add_u64 v[32:33], v[18:19], 4, s[10:11]
	global_load_dwordx4 v[32:35], v[32:33], off
	s_waitcnt vmcnt(1)
	v_ashrrev_i32_e32 v5, 31, v4
	v_lshl_add_u64 v[4:5], v[4:5], 4, s[10:11]
	global_load_dwordx4 v[36:39], v[4:5], off
	s_waitcnt vmcnt(0)
	v_fmac_f64_e32 v[22:23], v[32:33], v[36:37]
	v_fmac_f64_e32 v[24:25], v[34:35], v[36:37]
	v_fma_f64 v[22:23], -v[34:35], v[38:39], v[22:23]
	v_fmac_f64_e32 v[24:25], v[32:33], v[38:39]
	s_branch .LBB55_7
.LBB55_10:                              ;   in Loop: Header=BB55_4 Depth=1
	s_or_b64 exec, exec, s[40:41]
.LBB55_11:                              ;   in Loop: Header=BB55_4 Depth=1
	s_or_b64 exec, exec, s[38:39]
	v_add_f64 v[2:3], v[10:11], -v[22:23]
	v_add_f64 v[4:5], v[12:13], -v[24:25]
	v_cmp_gt_i32_e32 vcc, v29, v28
	s_and_saveexec_b64 s[2:3], vcc
	s_cbranch_execz .LBB55_13
; %bb.12:                               ;   in Loop: Header=BB55_4 Depth=1
	s_waitcnt vmcnt(0)
	v_mul_f64 v[32:33], v[8:9], v[8:9]
	v_fmac_f64_e32 v[32:33], v[6:7], v[6:7]
	v_div_scale_f64 v[34:35], s[38:39], v[32:33], v[32:33], 1.0
	v_rcp_f64_e32 v[36:37], v[34:35]
	v_div_scale_f64 v[38:39], vcc, 1.0, v[32:33], 1.0
	v_fma_f64 v[40:41], -v[34:35], v[36:37], 1.0
	v_fmac_f64_e32 v[36:37], v[36:37], v[40:41]
	v_fma_f64 v[40:41], -v[34:35], v[36:37], 1.0
	v_fmac_f64_e32 v[36:37], v[36:37], v[40:41]
	v_mul_f64 v[40:41], v[38:39], v[36:37]
	v_fma_f64 v[34:35], -v[34:35], v[40:41], v[38:39]
	v_div_fmas_f64 v[34:35], v[34:35], v[36:37], v[40:41]
	v_div_fixup_f64 v[32:33], v[34:35], v[32:33], 1.0
	v_mul_f64 v[34:35], v[8:9], v[4:5]
	v_fmac_f64_e32 v[34:35], v[2:3], v[6:7]
	v_mul_f64 v[2:3], v[8:9], -v[2:3]
	v_mul_f64 v[34:35], v[32:33], v[34:35]
	v_fmac_f64_e32 v[2:3], v[4:5], v[6:7]
	v_mul_f64 v[4:5], v[32:33], v[2:3]
	v_mov_b64_e32 v[2:3], v[34:35]
.LBB55_13:                              ;   in Loop: Header=BB55_4 Depth=1
	s_or_b64 exec, exec, s[2:3]
	v_add_f64 v[10:11], v[22:23], -v[10:11]
	v_add_f64 v[12:13], v[24:25], -v[12:13]
	v_cmp_lt_i32_e32 vcc, v20, v31
	s_and_saveexec_b64 s[2:3], vcc
	s_cbranch_execz .LBB55_21
; %bb.14:                               ;   in Loop: Header=BB55_4 Depth=1
	v_ashrrev_i32_e32 v21, 31, v20
	v_lshl_add_u64 v[22:23], v[20:21], 2, s[6:7]
	s_mov_b64 s[40:41], 0
                                        ; implicit-def: $sgpr38_sgpr39
                                        ; implicit-def: $sgpr44_sgpr45
                                        ; implicit-def: $sgpr42_sgpr43
	s_branch .LBB55_16
.LBB55_15:                              ;   in Loop: Header=BB55_16 Depth=2
	s_or_b64 exec, exec, s[46:47]
	s_and_b64 s[46:47], exec, s[44:45]
	s_or_b64 s[40:41], s[46:47], s[40:41]
	s_andn2_b64 s[38:39], s[38:39], exec
	s_and_b64 s[46:47], s[42:43], exec
	s_or_b64 s[38:39], s[38:39], s[46:47]
	s_andn2_b64 exec, exec, s[40:41]
	s_cbranch_execz .LBB55_18
.LBB55_16:                              ;   Parent Loop BB55_4 Depth=1
                                        ; =>  This Inner Loop Header: Depth=2
	global_load_dword v19, v[22:23], off
	v_mov_b64_e32 v[24:25], v[20:21]
	s_or_b64 s[42:43], s[42:43], exec
	s_or_b64 s[44:45], s[44:45], exec
                                        ; implicit-def: $vgpr20_vgpr21
	s_waitcnt vmcnt(0)
	v_cmp_ne_u32_e32 vcc, v19, v29
	s_and_saveexec_b64 s[46:47], vcc
	s_cbranch_execz .LBB55_15
; %bb.17:                               ;   in Loop: Header=BB55_16 Depth=2
	v_lshl_add_u64 v[20:21], v[24:25], 0, 1
	v_cmp_ge_i32_e32 vcc, v20, v31
	s_andn2_b64 s[44:45], s[44:45], exec
	s_and_b64 s[52:53], vcc, exec
	v_lshl_add_u64 v[22:23], v[22:23], 0, 4
	s_andn2_b64 s[42:43], s[42:43], exec
	s_or_b64 s[44:45], s[44:45], s[52:53]
	s_branch .LBB55_15
.LBB55_18:                              ;   in Loop: Header=BB55_4 Depth=1
	s_or_b64 exec, exec, s[40:41]
	s_and_saveexec_b64 s[40:41], s[38:39]
	s_xor_b64 s[38:39], exec, s[40:41]
	s_cbranch_execz .LBB55_20
; %bb.19:                               ;   in Loop: Header=BB55_4 Depth=1
	v_lshl_add_u64 v[20:21], v[24:25], 2, s[8:9]
	global_load_dword v20, v[20:21], off
	s_waitcnt vmcnt(0)
	v_ashrrev_i32_e32 v21, 31, v20
	v_lshl_add_u64 v[20:21], v[20:21], 4, s[10:11]
	global_load_dwordx4 v[20:23], v[20:21], off
	s_waitcnt vmcnt(0)
	v_add_f64 v[10:11], v[10:11], v[20:21]
	v_add_f64 v[12:13], v[12:13], v[22:23]
.LBB55_20:                              ;   in Loop: Header=BB55_4 Depth=1
	s_or_b64 exec, exec, s[38:39]
.LBB55_21:                              ;   in Loop: Header=BB55_4 Depth=1
	s_or_b64 exec, exec, s[2:3]
	v_cmp_lt_i32_e32 vcc, v18, v30
	s_and_saveexec_b64 s[2:3], vcc
	s_cbranch_execz .LBB55_29
; %bb.22:                               ;   in Loop: Header=BB55_4 Depth=1
	v_ashrrev_i32_e32 v19, 31, v18
	v_lshl_add_u64 v[20:21], v[18:19], 2, s[16:17]
	s_mov_b64 s[40:41], 0
                                        ; implicit-def: $sgpr38_sgpr39
                                        ; implicit-def: $sgpr44_sgpr45
                                        ; implicit-def: $sgpr42_sgpr43
	s_branch .LBB55_24
.LBB55_23:                              ;   in Loop: Header=BB55_24 Depth=2
	s_or_b64 exec, exec, s[46:47]
	s_and_b64 s[46:47], exec, s[44:45]
	s_or_b64 s[40:41], s[46:47], s[40:41]
	s_andn2_b64 s[38:39], s[38:39], exec
	s_and_b64 s[46:47], s[42:43], exec
	s_or_b64 s[38:39], s[38:39], s[46:47]
	s_andn2_b64 exec, exec, s[40:41]
	s_cbranch_execz .LBB55_26
.LBB55_24:                              ;   Parent Loop BB55_4 Depth=1
                                        ; =>  This Inner Loop Header: Depth=2
	global_load_dword v24, v[20:21], off
	v_mov_b64_e32 v[22:23], v[18:19]
	s_or_b64 s[42:43], s[42:43], exec
	s_or_b64 s[44:45], s[44:45], exec
                                        ; implicit-def: $vgpr18_vgpr19
	s_waitcnt vmcnt(0)
	v_cmp_ne_u32_e32 vcc, v24, v28
	s_and_saveexec_b64 s[46:47], vcc
	s_cbranch_execz .LBB55_23
; %bb.25:                               ;   in Loop: Header=BB55_24 Depth=2
	v_lshl_add_u64 v[18:19], v[22:23], 0, 1
	v_cmp_ge_i32_e32 vcc, v18, v30
	s_andn2_b64 s[44:45], s[44:45], exec
	s_and_b64 s[52:53], vcc, exec
	v_lshl_add_u64 v[20:21], v[20:21], 0, 4
	s_andn2_b64 s[42:43], s[42:43], exec
	s_or_b64 s[44:45], s[44:45], s[52:53]
	s_branch .LBB55_23
.LBB55_26:                              ;   in Loop: Header=BB55_4 Depth=1
	s_or_b64 exec, exec, s[40:41]
	s_and_saveexec_b64 s[40:41], s[38:39]
	s_xor_b64 s[38:39], exec, s[40:41]
	s_cbranch_execz .LBB55_28
; %bb.27:                               ;   in Loop: Header=BB55_4 Depth=1
	v_lshl_add_u64 v[18:19], v[22:23], 4, s[10:11]
	global_load_dwordx4 v[18:21], v[18:19], off
	s_waitcnt vmcnt(0)
	v_fmac_f64_e32 v[10:11], v[18:19], v[6:7]
	v_fmac_f64_e32 v[12:13], v[20:21], v[6:7]
	v_fma_f64 v[10:11], -v[20:21], v[8:9], v[10:11]
	v_fmac_f64_e32 v[12:13], v[18:19], v[8:9]
.LBB55_28:                              ;   in Loop: Header=BB55_4 Depth=1
	s_or_b64 exec, exec, s[38:39]
.LBB55_29:                              ;   in Loop: Header=BB55_4 Depth=1
	s_or_b64 exec, exec, s[2:3]
	s_waitcnt vmcnt(0)
	v_add_f64 v[6:7], v[6:7], v[10:11]
	v_add_f64 v[8:9], v[8:9], v[12:13]
	v_cmp_eq_u32_e32 vcc, v29, v28
	s_nop 1
	v_cndmask_b32_e32 v12, v12, v8, vcc
	v_cndmask_b32_e32 v8, v10, v6, vcc
	;; [unrolled: 1-line block ×4, first 2 shown]
	v_xor_b32_e32 v9, 0x80000000, v6
	v_cmp_lt_f64_e32 vcc, s[28:29], v[8:9]
	v_mov_b32_e32 v10, v12
	s_nop 0
	v_cndmask_b32_e32 v9, v6, v9, vcc
	v_xor_b32_e32 v6, 0x80000000, v13
	v_cmp_gt_f64_e32 vcc, 0, v[12:13]
	s_nop 1
	v_cndmask_b32_e32 v11, v13, v6, vcc
	v_cmp_ngt_f64_e32 vcc, v[8:9], v[10:11]
                                        ; implicit-def: $vgpr6_vgpr7
	s_and_saveexec_b64 s[2:3], vcc
	s_xor_b64 s[2:3], exec, s[2:3]
	s_cbranch_execz .LBB55_33
; %bb.30:                               ;   in Loop: Header=BB55_4 Depth=1
	v_mov_b64_e32 v[6:7], 0
	v_cmp_neq_f64_e32 vcc, 0, v[12:13]
	s_and_saveexec_b64 s[38:39], vcc
	s_cbranch_execz .LBB55_32
; %bb.31:                               ;   in Loop: Header=BB55_4 Depth=1
	v_div_scale_f64 v[6:7], s[40:41], v[10:11], v[10:11], v[8:9]
	v_rcp_f64_e32 v[12:13], v[6:7]
	v_div_scale_f64 v[18:19], vcc, v[8:9], v[10:11], v[8:9]
	v_fma_f64 v[20:21], -v[6:7], v[12:13], 1.0
	v_fmac_f64_e32 v[12:13], v[12:13], v[20:21]
	v_fma_f64 v[20:21], -v[6:7], v[12:13], 1.0
	v_fmac_f64_e32 v[12:13], v[12:13], v[20:21]
	v_mul_f64 v[20:21], v[18:19], v[12:13]
	v_fma_f64 v[6:7], -v[6:7], v[20:21], v[18:19]
	v_div_fmas_f64 v[6:7], v[6:7], v[12:13], v[20:21]
	v_div_fixup_f64 v[6:7], v[6:7], v[10:11], v[8:9]
	v_fma_f64 v[6:7], v[6:7], v[6:7], 1.0
	v_cmp_gt_f64_e32 vcc, s[30:31], v[6:7]
	s_nop 1
	v_cndmask_b32_e32 v8, 0, v26, vcc
	v_ldexp_f64 v[6:7], v[6:7], v8
	v_rsq_f64_e32 v[8:9], v[6:7]
	s_nop 0
	v_mul_f64 v[12:13], v[6:7], v[8:9]
	v_mul_f64 v[8:9], v[8:9], 0.5
	v_fma_f64 v[18:19], -v[8:9], v[12:13], 0.5
	v_fmac_f64_e32 v[12:13], v[12:13], v[18:19]
	v_fma_f64 v[20:21], -v[12:13], v[12:13], v[6:7]
	v_fmac_f64_e32 v[8:9], v[8:9], v[18:19]
	v_fmac_f64_e32 v[12:13], v[20:21], v[8:9]
	v_fma_f64 v[18:19], -v[12:13], v[12:13], v[6:7]
	v_fmac_f64_e32 v[12:13], v[18:19], v[8:9]
	v_cndmask_b32_e32 v8, 0, v27, vcc
	v_ldexp_f64 v[8:9], v[12:13], v8
	v_cmp_class_f64_e32 vcc, v[6:7], v1
	s_nop 1
	v_cndmask_b32_e32 v7, v9, v7, vcc
	v_cndmask_b32_e32 v6, v8, v6, vcc
	v_mul_f64 v[6:7], v[10:11], v[6:7]
.LBB55_32:                              ;   in Loop: Header=BB55_4 Depth=1
	s_or_b64 exec, exec, s[38:39]
                                        ; implicit-def: $vgpr8_vgpr9
                                        ; implicit-def: $vgpr10_vgpr11
.LBB55_33:                              ;   in Loop: Header=BB55_4 Depth=1
	s_andn2_saveexec_b64 s[2:3], s[2:3]
	s_cbranch_execz .LBB55_35
; %bb.34:                               ;   in Loop: Header=BB55_4 Depth=1
	v_div_scale_f64 v[6:7], s[38:39], v[8:9], v[8:9], v[10:11]
	v_rcp_f64_e32 v[12:13], v[6:7]
	v_div_scale_f64 v[18:19], vcc, v[10:11], v[8:9], v[10:11]
	v_fma_f64 v[20:21], -v[6:7], v[12:13], 1.0
	v_fmac_f64_e32 v[12:13], v[12:13], v[20:21]
	v_fma_f64 v[20:21], -v[6:7], v[12:13], 1.0
	v_fmac_f64_e32 v[12:13], v[12:13], v[20:21]
	v_mul_f64 v[20:21], v[18:19], v[12:13]
	v_fma_f64 v[6:7], -v[6:7], v[20:21], v[18:19]
	v_div_fmas_f64 v[6:7], v[6:7], v[12:13], v[20:21]
	v_div_fixup_f64 v[6:7], v[6:7], v[8:9], v[10:11]
	v_fma_f64 v[6:7], v[6:7], v[6:7], 1.0
	v_cmp_gt_f64_e32 vcc, s[30:31], v[6:7]
	s_nop 1
	v_cndmask_b32_e32 v10, 0, v26, vcc
	v_ldexp_f64 v[6:7], v[6:7], v10
	v_rsq_f64_e32 v[10:11], v[6:7]
	s_nop 0
	v_mul_f64 v[12:13], v[6:7], v[10:11]
	v_mul_f64 v[10:11], v[10:11], 0.5
	v_fma_f64 v[18:19], -v[10:11], v[12:13], 0.5
	v_fmac_f64_e32 v[12:13], v[12:13], v[18:19]
	v_fma_f64 v[20:21], -v[12:13], v[12:13], v[6:7]
	v_fmac_f64_e32 v[10:11], v[10:11], v[18:19]
	v_fmac_f64_e32 v[12:13], v[20:21], v[10:11]
	v_fma_f64 v[18:19], -v[12:13], v[12:13], v[6:7]
	v_fmac_f64_e32 v[12:13], v[18:19], v[10:11]
	v_cndmask_b32_e32 v10, 0, v27, vcc
	v_ldexp_f64 v[10:11], v[12:13], v10
	v_cmp_class_f64_e32 vcc, v[6:7], v1
	s_nop 1
	v_cndmask_b32_e32 v7, v11, v7, vcc
	v_cndmask_b32_e32 v6, v10, v6, vcc
	v_mul_f64 v[6:7], v[8:9], v[6:7]
.LBB55_35:                              ;   in Loop: Header=BB55_4 Depth=1
	s_or_b64 exec, exec, s[2:3]
	v_xor_b32_e32 v8, 0x80000000, v3
	v_cmp_gt_f64_e32 vcc, 0, v[2:3]
	v_xor_b32_e32 v10, 0x80000000, v5
                                        ; implicit-def: $vgpr12_vgpr13
	s_nop 0
	v_cndmask_b32_e32 v9, v3, v8, vcc
	v_cmp_gt_f64_e32 vcc, 0, v[4:5]
	v_mov_b32_e32 v8, v2
	s_nop 0
	v_cndmask_b32_e32 v11, v5, v10, vcc
	v_mov_b32_e32 v10, v4
	v_cmp_ngt_f64_e32 vcc, v[8:9], v[10:11]
	s_and_saveexec_b64 s[2:3], vcc
	s_xor_b64 s[2:3], exec, s[2:3]
	s_cbranch_execz .LBB55_39
; %bb.36:                               ;   in Loop: Header=BB55_4 Depth=1
	v_mov_b64_e32 v[12:13], 0
	v_cmp_neq_f64_e32 vcc, 0, v[4:5]
	s_and_saveexec_b64 s[38:39], vcc
	s_cbranch_execz .LBB55_38
; %bb.37:                               ;   in Loop: Header=BB55_4 Depth=1
	v_div_scale_f64 v[12:13], s[40:41], v[10:11], v[10:11], v[8:9]
	v_rcp_f64_e32 v[18:19], v[12:13]
	v_div_scale_f64 v[20:21], vcc, v[8:9], v[10:11], v[8:9]
	v_fma_f64 v[22:23], -v[12:13], v[18:19], 1.0
	v_fmac_f64_e32 v[18:19], v[18:19], v[22:23]
	v_fma_f64 v[22:23], -v[12:13], v[18:19], 1.0
	v_fmac_f64_e32 v[18:19], v[18:19], v[22:23]
	v_mul_f64 v[22:23], v[20:21], v[18:19]
	v_fma_f64 v[12:13], -v[12:13], v[22:23], v[20:21]
	v_div_fmas_f64 v[12:13], v[12:13], v[18:19], v[22:23]
	v_div_fixup_f64 v[8:9], v[12:13], v[10:11], v[8:9]
	v_fma_f64 v[8:9], v[8:9], v[8:9], 1.0
	v_cmp_gt_f64_e32 vcc, s[30:31], v[8:9]
	s_nop 1
	v_cndmask_b32_e32 v12, 0, v26, vcc
	v_ldexp_f64 v[8:9], v[8:9], v12
	v_rsq_f64_e32 v[12:13], v[8:9]
	s_nop 0
	v_mul_f64 v[18:19], v[8:9], v[12:13]
	v_mul_f64 v[12:13], v[12:13], 0.5
	v_fma_f64 v[20:21], -v[12:13], v[18:19], 0.5
	v_fmac_f64_e32 v[18:19], v[18:19], v[20:21]
	v_fma_f64 v[22:23], -v[18:19], v[18:19], v[8:9]
	v_fmac_f64_e32 v[12:13], v[12:13], v[20:21]
	v_fmac_f64_e32 v[18:19], v[22:23], v[12:13]
	v_fma_f64 v[20:21], -v[18:19], v[18:19], v[8:9]
	v_fmac_f64_e32 v[18:19], v[20:21], v[12:13]
	v_cndmask_b32_e32 v12, 0, v27, vcc
	v_ldexp_f64 v[12:13], v[18:19], v12
	v_cmp_class_f64_e32 vcc, v[8:9], v1
	s_nop 1
	v_cndmask_b32_e32 v9, v13, v9, vcc
	v_cndmask_b32_e32 v8, v12, v8, vcc
	v_mul_f64 v[12:13], v[10:11], v[8:9]
.LBB55_38:                              ;   in Loop: Header=BB55_4 Depth=1
	s_or_b64 exec, exec, s[38:39]
                                        ; implicit-def: $vgpr8_vgpr9
                                        ; implicit-def: $vgpr10_vgpr11
.LBB55_39:                              ;   in Loop: Header=BB55_4 Depth=1
	s_andn2_saveexec_b64 s[2:3], s[2:3]
	s_cbranch_execz .LBB55_41
; %bb.40:                               ;   in Loop: Header=BB55_4 Depth=1
	v_div_scale_f64 v[12:13], s[38:39], v[8:9], v[8:9], v[10:11]
	v_rcp_f64_e32 v[18:19], v[12:13]
	v_div_scale_f64 v[20:21], vcc, v[10:11], v[8:9], v[10:11]
	v_fma_f64 v[22:23], -v[12:13], v[18:19], 1.0
	v_fmac_f64_e32 v[18:19], v[18:19], v[22:23]
	v_fma_f64 v[22:23], -v[12:13], v[18:19], 1.0
	v_fmac_f64_e32 v[18:19], v[18:19], v[22:23]
	v_mul_f64 v[22:23], v[20:21], v[18:19]
	v_fma_f64 v[12:13], -v[12:13], v[22:23], v[20:21]
	v_div_fmas_f64 v[12:13], v[12:13], v[18:19], v[22:23]
	v_div_fixup_f64 v[10:11], v[12:13], v[8:9], v[10:11]
	v_fma_f64 v[10:11], v[10:11], v[10:11], 1.0
	v_cmp_gt_f64_e32 vcc, s[30:31], v[10:11]
	s_nop 1
	v_cndmask_b32_e32 v12, 0, v26, vcc
	v_ldexp_f64 v[10:11], v[10:11], v12
	v_rsq_f64_e32 v[12:13], v[10:11]
	s_nop 0
	v_mul_f64 v[18:19], v[10:11], v[12:13]
	v_mul_f64 v[12:13], v[12:13], 0.5
	v_fma_f64 v[20:21], -v[12:13], v[18:19], 0.5
	v_fmac_f64_e32 v[18:19], v[18:19], v[20:21]
	v_fma_f64 v[22:23], -v[18:19], v[18:19], v[10:11]
	v_fmac_f64_e32 v[12:13], v[12:13], v[20:21]
	v_fmac_f64_e32 v[18:19], v[22:23], v[12:13]
	v_fma_f64 v[20:21], -v[18:19], v[18:19], v[10:11]
	v_fmac_f64_e32 v[18:19], v[20:21], v[12:13]
	v_cndmask_b32_e32 v12, 0, v27, vcc
	v_ldexp_f64 v[12:13], v[18:19], v12
	v_cmp_class_f64_e32 vcc, v[10:11], v1
	s_nop 1
	v_cndmask_b32_e32 v11, v13, v11, vcc
	v_cndmask_b32_e32 v10, v12, v10, vcc
	v_mul_f64 v[12:13], v[8:9], v[10:11]
.LBB55_41:                              ;   in Loop: Header=BB55_4 Depth=1
	s_or_b64 exec, exec, s[2:3]
	v_cmp_nlg_f64_e64 s[2:3], |v[6:7]|, s[34:35]
	v_cmp_gt_f64_e32 vcc, v[14:15], v[6:7]
	v_cmp_class_f64_e64 s[40:41], v[12:13], s50
	s_and_saveexec_b64 s[38:39], s[40:41]
	s_cbranch_execz .LBB55_2
; %bb.42:                               ;   in Loop: Header=BB55_4 Depth=1
	v_lshl_add_u64 v[8:9], v[16:17], 4, s[10:11]
	global_store_dwordx4 v[8:9], v[2:5], off
	s_branch .LBB55_2
.LBB55_43:
	s_or_b64 exec, exec, s[24:25]
	v_mov_b32_dpp v2, v14 row_shr:1 row_mask:0xf bank_mask:0xf
	v_mov_b32_dpp v3, v15 row_shr:1 row_mask:0xf bank_mask:0xf
	v_cmp_lt_f64_e32 vcc, v[14:15], v[2:3]
	v_and_b32_e32 v1, 63, v0
	s_nop 0
	v_cndmask_b32_e32 v3, v15, v3, vcc
	v_cndmask_b32_e32 v2, v14, v2, vcc
	s_nop 0
	v_mov_b32_dpp v5, v3 row_shr:2 row_mask:0xf bank_mask:0xf
	v_mov_b32_dpp v4, v2 row_shr:2 row_mask:0xf bank_mask:0xf
	v_cmp_lt_f64_e32 vcc, v[2:3], v[4:5]
	s_nop 1
	v_cndmask_b32_e32 v3, v3, v5, vcc
	v_cndmask_b32_e32 v2, v2, v4, vcc
	s_nop 0
	v_mov_b32_dpp v5, v3 row_shr:4 row_mask:0xf bank_mask:0xe
	v_mov_b32_dpp v4, v2 row_shr:4 row_mask:0xf bank_mask:0xe
	v_cmp_lt_f64_e32 vcc, v[2:3], v[4:5]
	s_nop 1
	v_cndmask_b32_e32 v3, v3, v5, vcc
	v_cndmask_b32_e32 v2, v2, v4, vcc
	s_nop 0
	v_mov_b32_dpp v5, v3 row_shr:8 row_mask:0xf bank_mask:0xc
	v_mov_b32_dpp v4, v2 row_shr:8 row_mask:0xf bank_mask:0xc
	v_cmp_lt_f64_e32 vcc, v[2:3], v[4:5]
	s_nop 1
	v_cndmask_b32_e32 v3, v3, v5, vcc
	v_cndmask_b32_e32 v2, v2, v4, vcc
	s_nop 0
	v_mov_b32_dpp v5, v3 row_bcast:15 row_mask:0xa bank_mask:0xf
	v_mov_b32_dpp v4, v2 row_bcast:15 row_mask:0xa bank_mask:0xf
	v_cmp_lt_f64_e32 vcc, v[2:3], v[4:5]
	s_nop 1
	v_cndmask_b32_e32 v3, v3, v5, vcc
	v_cndmask_b32_e32 v2, v2, v4, vcc
	v_cmp_eq_u32_e32 vcc, 63, v1
	v_mov_b32_dpp v6, v3 row_bcast:31 row_mask:0xc bank_mask:0xf
	v_mov_b32_dpp v4, v2 row_bcast:31 row_mask:0xc bank_mask:0xf
	s_and_saveexec_b64 s[2:3], vcc
	s_cbranch_execz .LBB55_45
; %bb.44:
	v_mov_b32_e32 v5, v6
	v_lshrrev_b32_e32 v1, 3, v0
	v_cmp_lt_f64_e32 vcc, v[2:3], v[4:5]
	v_and_b32_e32 v1, 0x78, v1
	s_nop 0
	v_cndmask_b32_e32 v3, v3, v6, vcc
	v_cndmask_b32_e32 v2, v2, v4, vcc
	ds_write_b64 v1, v[2:3]
.LBB55_45:
	s_or_b64 exec, exec, s[2:3]
	v_cmp_gt_u32_e32 vcc, 8, v0
	v_lshlrev_b32_e32 v1, 3, v0
	s_waitcnt lgkmcnt(0)
	s_barrier
	s_and_saveexec_b64 s[2:3], vcc
	s_cbranch_execz .LBB55_47
; %bb.46:
	ds_read2_b64 v[2:5], v1 offset1:8
	s_waitcnt lgkmcnt(0)
	v_cmp_lt_f64_e32 vcc, v[2:3], v[4:5]
	s_nop 1
	v_cndmask_b32_e32 v3, v3, v5, vcc
	v_cndmask_b32_e32 v2, v2, v4, vcc
	ds_write_b64 v1, v[2:3]
.LBB55_47:
	s_or_b64 exec, exec, s[2:3]
	v_cmp_gt_u32_e32 vcc, 4, v0
	s_waitcnt lgkmcnt(0)
	s_barrier
	s_and_saveexec_b64 s[2:3], vcc
	s_cbranch_execz .LBB55_49
; %bb.48:
	ds_read2_b64 v[2:5], v1 offset1:4
	s_waitcnt lgkmcnt(0)
	v_cmp_lt_f64_e32 vcc, v[2:3], v[4:5]
	s_nop 1
	v_cndmask_b32_e32 v3, v3, v5, vcc
	v_cndmask_b32_e32 v2, v2, v4, vcc
	ds_write_b64 v1, v[2:3]
.LBB55_49:
	s_or_b64 exec, exec, s[2:3]
	v_cmp_gt_u32_e32 vcc, 2, v0
	s_waitcnt lgkmcnt(0)
	s_barrier
	s_and_saveexec_b64 s[2:3], vcc
	s_cbranch_execz .LBB55_51
; %bb.50:
	ds_read2_b64 v[2:5], v1 offset1:2
	s_waitcnt lgkmcnt(0)
	v_cmp_lt_f64_e32 vcc, v[2:3], v[4:5]
	s_nop 1
	v_cndmask_b32_e32 v3, v3, v5, vcc
	v_cndmask_b32_e32 v2, v2, v4, vcc
	ds_write_b64 v1, v[2:3]
.LBB55_51:
	s_or_b64 exec, exec, s[2:3]
	v_cmp_eq_u32_e32 vcc, 0, v0
	s_waitcnt lgkmcnt(0)
	s_barrier
	s_and_saveexec_b64 s[4:5], vcc
	s_cbranch_execz .LBB55_53
; %bb.52:
	v_mov_b32_e32 v4, 0
	ds_read_b128 v[0:3], v4
	s_waitcnt lgkmcnt(0)
	v_cmp_lt_f64_e64 s[2:3], v[0:1], v[2:3]
	s_nop 1
	v_cndmask_b32_e64 v1, v1, v3, s[2:3]
	v_cndmask_b32_e64 v0, v0, v2, s[2:3]
	ds_write_b64 v4, v[0:1]
.LBB55_53:
	s_or_b64 exec, exec, s[4:5]
	s_waitcnt lgkmcnt(0)
	s_barrier
	s_and_saveexec_b64 s[2:3], vcc
	s_cbranch_execz .LBB55_56
; %bb.54:
	v_mbcnt_lo_u32_b32 v0, exec_lo, 0
	v_mbcnt_hi_u32_b32 v0, exec_hi, v0
	v_cmp_eq_u32_e32 vcc, 0, v0
	s_and_b64 exec, exec, vcc
	s_cbranch_execz .LBB55_56
; %bb.55:
	s_load_dwordx4 s[4:7], s[0:1], 0x68
	v_mov_b32_e32 v10, 0
	ds_read_b64 v[0:1], v10
	s_waitcnt lgkmcnt(0)
	s_load_dwordx2 s[0:1], s[6:7], 0x0
	s_waitcnt lgkmcnt(0)
	v_div_scale_f64 v[2:3], s[2:3], s[0:1], s[0:1], v[0:1]
	v_rcp_f64_e32 v[4:5], v[2:3]
	v_div_scale_f64 v[6:7], vcc, v[0:1], s[0:1], v[0:1]
	v_fma_f64 v[8:9], -v[2:3], v[4:5], 1.0
	v_fmac_f64_e32 v[4:5], v[4:5], v[8:9]
	v_fma_f64 v[8:9], -v[2:3], v[4:5], 1.0
	v_fmac_f64_e32 v[4:5], v[4:5], v[8:9]
	v_mul_f64 v[8:9], v[6:7], v[4:5]
	v_fma_f64 v[2:3], -v[2:3], v[8:9], v[6:7]
	v_div_fmas_f64 v[2:3], v[2:3], v[4:5], v[8:9]
	v_div_fixup_f64 v[0:1], v[2:3], s[0:1], v[0:1]
	global_atomic_max_f64 v10, v[0:1], s[4:5]
.LBB55_56:
	s_endpgm
	.section	.rodata,"a",@progbits
	.p2align	6, 0x0
	.amdhsa_kernel _ZN9rocsparseL20kernel_calculate_cooILi1024ELi64ELb1E21rocsparse_complex_numIdEiiEEvT4_T3_PKS3_S6_PKT2_21rocsparse_index_base_PKS4_SC_S6_SC_SC_S6_SC_PS7_PNS_15floating_traitsIS7_E6data_tEPKSG_
		.amdhsa_group_segment_fixed_size 128
		.amdhsa_private_segment_fixed_size 0
		.amdhsa_kernarg_size 120
		.amdhsa_user_sgpr_count 2
		.amdhsa_user_sgpr_dispatch_ptr 0
		.amdhsa_user_sgpr_queue_ptr 0
		.amdhsa_user_sgpr_kernarg_segment_ptr 1
		.amdhsa_user_sgpr_dispatch_id 0
		.amdhsa_user_sgpr_kernarg_preload_length 0
		.amdhsa_user_sgpr_kernarg_preload_offset 0
		.amdhsa_user_sgpr_private_segment_size 0
		.amdhsa_uses_dynamic_stack 0
		.amdhsa_enable_private_segment 0
		.amdhsa_system_sgpr_workgroup_id_x 1
		.amdhsa_system_sgpr_workgroup_id_y 0
		.amdhsa_system_sgpr_workgroup_id_z 0
		.amdhsa_system_sgpr_workgroup_info 0
		.amdhsa_system_vgpr_workitem_id 0
		.amdhsa_next_free_vgpr 42
		.amdhsa_next_free_sgpr 54
		.amdhsa_accum_offset 44
		.amdhsa_reserve_vcc 1
		.amdhsa_float_round_mode_32 0
		.amdhsa_float_round_mode_16_64 0
		.amdhsa_float_denorm_mode_32 3
		.amdhsa_float_denorm_mode_16_64 3
		.amdhsa_dx10_clamp 1
		.amdhsa_ieee_mode 1
		.amdhsa_fp16_overflow 0
		.amdhsa_tg_split 0
		.amdhsa_exception_fp_ieee_invalid_op 0
		.amdhsa_exception_fp_denorm_src 0
		.amdhsa_exception_fp_ieee_div_zero 0
		.amdhsa_exception_fp_ieee_overflow 0
		.amdhsa_exception_fp_ieee_underflow 0
		.amdhsa_exception_fp_ieee_inexact 0
		.amdhsa_exception_int_div_zero 0
	.end_amdhsa_kernel
	.section	.text._ZN9rocsparseL20kernel_calculate_cooILi1024ELi64ELb1E21rocsparse_complex_numIdEiiEEvT4_T3_PKS3_S6_PKT2_21rocsparse_index_base_PKS4_SC_S6_SC_SC_S6_SC_PS7_PNS_15floating_traitsIS7_E6data_tEPKSG_,"axG",@progbits,_ZN9rocsparseL20kernel_calculate_cooILi1024ELi64ELb1E21rocsparse_complex_numIdEiiEEvT4_T3_PKS3_S6_PKT2_21rocsparse_index_base_PKS4_SC_S6_SC_SC_S6_SC_PS7_PNS_15floating_traitsIS7_E6data_tEPKSG_,comdat
.Lfunc_end55:
	.size	_ZN9rocsparseL20kernel_calculate_cooILi1024ELi64ELb1E21rocsparse_complex_numIdEiiEEvT4_T3_PKS3_S6_PKT2_21rocsparse_index_base_PKS4_SC_S6_SC_SC_S6_SC_PS7_PNS_15floating_traitsIS7_E6data_tEPKSG_, .Lfunc_end55-_ZN9rocsparseL20kernel_calculate_cooILi1024ELi64ELb1E21rocsparse_complex_numIdEiiEEvT4_T3_PKS3_S6_PKT2_21rocsparse_index_base_PKS4_SC_S6_SC_SC_S6_SC_PS7_PNS_15floating_traitsIS7_E6data_tEPKSG_
                                        ; -- End function
	.set _ZN9rocsparseL20kernel_calculate_cooILi1024ELi64ELb1E21rocsparse_complex_numIdEiiEEvT4_T3_PKS3_S6_PKT2_21rocsparse_index_base_PKS4_SC_S6_SC_SC_S6_SC_PS7_PNS_15floating_traitsIS7_E6data_tEPKSG_.num_vgpr, 42
	.set _ZN9rocsparseL20kernel_calculate_cooILi1024ELi64ELb1E21rocsparse_complex_numIdEiiEEvT4_T3_PKS3_S6_PKT2_21rocsparse_index_base_PKS4_SC_S6_SC_SC_S6_SC_PS7_PNS_15floating_traitsIS7_E6data_tEPKSG_.num_agpr, 0
	.set _ZN9rocsparseL20kernel_calculate_cooILi1024ELi64ELb1E21rocsparse_complex_numIdEiiEEvT4_T3_PKS3_S6_PKT2_21rocsparse_index_base_PKS4_SC_S6_SC_SC_S6_SC_PS7_PNS_15floating_traitsIS7_E6data_tEPKSG_.numbered_sgpr, 54
	.set _ZN9rocsparseL20kernel_calculate_cooILi1024ELi64ELb1E21rocsparse_complex_numIdEiiEEvT4_T3_PKS3_S6_PKT2_21rocsparse_index_base_PKS4_SC_S6_SC_SC_S6_SC_PS7_PNS_15floating_traitsIS7_E6data_tEPKSG_.num_named_barrier, 0
	.set _ZN9rocsparseL20kernel_calculate_cooILi1024ELi64ELb1E21rocsparse_complex_numIdEiiEEvT4_T3_PKS3_S6_PKT2_21rocsparse_index_base_PKS4_SC_S6_SC_SC_S6_SC_PS7_PNS_15floating_traitsIS7_E6data_tEPKSG_.private_seg_size, 0
	.set _ZN9rocsparseL20kernel_calculate_cooILi1024ELi64ELb1E21rocsparse_complex_numIdEiiEEvT4_T3_PKS3_S6_PKT2_21rocsparse_index_base_PKS4_SC_S6_SC_SC_S6_SC_PS7_PNS_15floating_traitsIS7_E6data_tEPKSG_.uses_vcc, 1
	.set _ZN9rocsparseL20kernel_calculate_cooILi1024ELi64ELb1E21rocsparse_complex_numIdEiiEEvT4_T3_PKS3_S6_PKT2_21rocsparse_index_base_PKS4_SC_S6_SC_SC_S6_SC_PS7_PNS_15floating_traitsIS7_E6data_tEPKSG_.uses_flat_scratch, 0
	.set _ZN9rocsparseL20kernel_calculate_cooILi1024ELi64ELb1E21rocsparse_complex_numIdEiiEEvT4_T3_PKS3_S6_PKT2_21rocsparse_index_base_PKS4_SC_S6_SC_SC_S6_SC_PS7_PNS_15floating_traitsIS7_E6data_tEPKSG_.has_dyn_sized_stack, 0
	.set _ZN9rocsparseL20kernel_calculate_cooILi1024ELi64ELb1E21rocsparse_complex_numIdEiiEEvT4_T3_PKS3_S6_PKT2_21rocsparse_index_base_PKS4_SC_S6_SC_SC_S6_SC_PS7_PNS_15floating_traitsIS7_E6data_tEPKSG_.has_recursion, 0
	.set _ZN9rocsparseL20kernel_calculate_cooILi1024ELi64ELb1E21rocsparse_complex_numIdEiiEEvT4_T3_PKS3_S6_PKT2_21rocsparse_index_base_PKS4_SC_S6_SC_SC_S6_SC_PS7_PNS_15floating_traitsIS7_E6data_tEPKSG_.has_indirect_call, 0
	.section	.AMDGPU.csdata,"",@progbits
; Kernel info:
; codeLenInByte = 3088
; TotalNumSgprs: 60
; NumVgprs: 42
; NumAgprs: 0
; TotalNumVgprs: 42
; ScratchSize: 0
; MemoryBound: 1
; FloatMode: 240
; IeeeMode: 1
; LDSByteSize: 128 bytes/workgroup (compile time only)
; SGPRBlocks: 7
; VGPRBlocks: 5
; NumSGPRsForWavesPerEU: 60
; NumVGPRsForWavesPerEU: 42
; AccumOffset: 44
; Occupancy: 8
; WaveLimiterHint : 1
; COMPUTE_PGM_RSRC2:SCRATCH_EN: 0
; COMPUTE_PGM_RSRC2:USER_SGPR: 2
; COMPUTE_PGM_RSRC2:TRAP_HANDLER: 0
; COMPUTE_PGM_RSRC2:TGID_X_EN: 1
; COMPUTE_PGM_RSRC2:TGID_Y_EN: 0
; COMPUTE_PGM_RSRC2:TGID_Z_EN: 0
; COMPUTE_PGM_RSRC2:TIDIG_COMP_CNT: 0
; COMPUTE_PGM_RSRC3_GFX90A:ACCUM_OFFSET: 10
; COMPUTE_PGM_RSRC3_GFX90A:TG_SPLIT: 0
	.section	.text._ZN9rocsparseL16kernel_calculateILi1024ELi1ELb1E21rocsparse_complex_numIdEiiEEvT4_T3_PKS4_S6_PKS3_PKT2_21rocsparse_index_base_S6_S6_S8_S6_S6_S8_S6_PS9_PNS_15floating_traitsIS9_E6data_tEPKSG_,"axG",@progbits,_ZN9rocsparseL16kernel_calculateILi1024ELi1ELb1E21rocsparse_complex_numIdEiiEEvT4_T3_PKS4_S6_PKS3_PKT2_21rocsparse_index_base_S6_S6_S8_S6_S6_S8_S6_PS9_PNS_15floating_traitsIS9_E6data_tEPKSG_,comdat
	.globl	_ZN9rocsparseL16kernel_calculateILi1024ELi1ELb1E21rocsparse_complex_numIdEiiEEvT4_T3_PKS4_S6_PKS3_PKT2_21rocsparse_index_base_S6_S6_S8_S6_S6_S8_S6_PS9_PNS_15floating_traitsIS9_E6data_tEPKSG_ ; -- Begin function _ZN9rocsparseL16kernel_calculateILi1024ELi1ELb1E21rocsparse_complex_numIdEiiEEvT4_T3_PKS4_S6_PKS3_PKT2_21rocsparse_index_base_S6_S6_S8_S6_S6_S8_S6_PS9_PNS_15floating_traitsIS9_E6data_tEPKSG_
	.p2align	8
	.type	_ZN9rocsparseL16kernel_calculateILi1024ELi1ELb1E21rocsparse_complex_numIdEiiEEvT4_T3_PKS4_S6_PKS3_PKT2_21rocsparse_index_base_S6_S6_S8_S6_S6_S8_S6_PS9_PNS_15floating_traitsIS9_E6data_tEPKSG_,@function
_ZN9rocsparseL16kernel_calculateILi1024ELi1ELb1E21rocsparse_complex_numIdEiiEEvT4_T3_PKS4_S6_PKS3_PKT2_21rocsparse_index_base_S6_S6_S8_S6_S6_S8_S6_PS9_PNS_15floating_traitsIS9_E6data_tEPKSG_: ; @_ZN9rocsparseL16kernel_calculateILi1024ELi1ELb1E21rocsparse_complex_numIdEiiEEvT4_T3_PKS4_S6_PKS3_PKT2_21rocsparse_index_base_S6_S6_S8_S6_S6_S8_S6_PS9_PNS_15floating_traitsIS9_E6data_tEPKSG_
; %bb.0:
	s_load_dword s3, s[0:1], 0x0
	v_lshl_or_b32 v14, s2, 10, v0
	v_mov_b64_e32 v[16:17], 0
	s_waitcnt lgkmcnt(0)
	v_cmp_gt_i32_e32 vcc, s3, v14
	s_and_saveexec_b64 s[24:25], vcc
	s_cbranch_execz .LBB56_44
; %bb.1:
	s_load_dwordx4 s[4:7], s[0:1], 0x8
	v_ashrrev_i32_e32 v15, 31, v14
	v_lshlrev_b64 v[2:3], 2, v[14:15]
	v_mov_b64_e32 v[16:17], 0
	s_waitcnt lgkmcnt(0)
	v_lshl_add_u64 v[6:7], s[6:7], 0, v[2:3]
	v_lshl_add_u64 v[8:9], s[4:5], 0, v[2:3]
	global_load_dword v4, v[6:7], off
	global_load_dword v5, v[8:9], off
	s_waitcnt vmcnt(0)
	v_cmp_lt_i32_e32 vcc, v5, v4
	s_and_saveexec_b64 s[26:27], vcc
	s_cbranch_execz .LBB56_43
; %bb.2:
	s_load_dwordx8 s[4:11], s[0:1], 0x30
	s_mov_b32 s30, 0
	s_mov_b32 s34, 0
	;; [unrolled: 1-line block ×3, first 2 shown]
	v_mov_b64_e32 v[16:17], 0
	s_waitcnt lgkmcnt(0)
	v_lshl_add_u64 v[6:7], s[4:5], 0, v[2:3]
	v_lshl_add_u64 v[2:3], s[6:7], 0, v[2:3]
	global_load_dword v8, v[2:3], off
	global_load_dword v9, v[6:7], off
	s_load_dwordx8 s[12:19], s[0:1], 0x50
	s_load_dwordx4 s[20:23], s[0:1], 0x18
	s_load_dword s33, s[0:1], 0x28
	s_mov_b64 s[28:29], 0
	s_brev_b32 s31, 1
	s_brev_b32 s35, 8
	v_mov_b32_e32 v1, 0x260
	s_movk_i32 s48, 0x1f8
	s_mov_b32 s37, 0x7ff00000
	v_mov_b32_e32 v15, 0x100
	s_waitcnt lgkmcnt(0)
	v_subrev_u32_e32 v30, s33, v4
	v_subrev_u32_e32 v18, s33, v5
	v_mov_b32_e32 v33, 0xffffff80
	s_waitcnt vmcnt(1)
	v_subrev_u32_e32 v31, s33, v8
	s_waitcnt vmcnt(0)
	v_subrev_u32_e32 v32, s33, v9
	v_cmp_lt_i32_e64 s[2:3], v9, v8
	s_branch .LBB56_4
.LBB56_3:                               ;   in Loop: Header=BB56_4 Depth=1
	s_or_b64 exec, exec, s[4:5]
	v_cmp_nlg_f64_e64 s[4:5], |v[6:7]|, s[36:37]
	v_cmp_gt_f64_e32 vcc, v[16:17], v[6:7]
	v_add_u32_e32 v18, 1, v18
	s_or_b64 vcc, s[4:5], vcc
	v_cmp_ge_i32_e64 s[4:5], v18, v30
	v_cndmask_b32_e32 v17, v7, v17, vcc
	s_or_b64 s[28:29], s[4:5], s[28:29]
	v_cndmask_b32_e32 v16, v6, v16, vcc
	s_andn2_b64 exec, exec, s[28:29]
	s_cbranch_execz .LBB56_42
.LBB56_4:                               ; =>This Loop Header: Depth=1
                                        ;     Child Loop BB56_7 Depth 2
                                        ;     Child Loop BB56_15 Depth 2
	;; [unrolled: 1-line block ×3, first 2 shown]
	v_ashrrev_i32_e32 v19, 31, v18
	v_lshl_add_u64 v[2:3], v[18:19], 2, s[20:21]
	global_load_dword v34, v[2:3], off
	v_mov_b32_e32 v22, v32
	v_mov_b64_e32 v[26:27], 0
	v_mov_b64_e32 v[28:29], 0
	s_waitcnt vmcnt(0)
	v_subrev_u32_e32 v20, s33, v34
	v_ashrrev_i32_e32 v21, 31, v20
	v_lshlrev_b64 v[2:3], 2, v[20:21]
	v_lshl_add_u64 v[4:5], s[6:7], 0, v[2:3]
	global_load_dword v6, v[4:5], off
	v_lshl_add_u64 v[4:5], s[12:13], 0, v[2:3]
	v_lshl_add_u64 v[2:3], s[10:11], 0, v[2:3]
	global_load_dword v4, v[4:5], off
	s_waitcnt vmcnt(0)
	v_subrev_u32_e32 v21, s33, v4
	global_load_dword v5, v[2:3], off
	v_lshl_add_u64 v[2:3], v[18:19], 4, s[22:23]
	global_load_dwordx4 v[10:13], v[2:3], off
	v_subrev_u32_e32 v2, s33, v6
	v_ashrrev_i32_e32 v3, 31, v2
	v_lshl_add_u64 v[2:3], v[2:3], 4, s[18:19]
	global_load_dwordx4 v[6:9], v[2:3], off
	s_waitcnt vmcnt(2)
	v_cmp_lt_i32_e32 vcc, v5, v4
	v_subrev_u32_e32 v24, s33, v5
	s_and_b64 s[4:5], s[2:3], vcc
	s_and_saveexec_b64 s[38:39], s[4:5]
	s_cbranch_execz .LBB56_10
; %bb.5:                                ;   in Loop: Header=BB56_4 Depth=1
	v_mov_b64_e32 v[26:27], 0
	s_mov_b64 s[40:41], 0
	v_mov_b32_e32 v22, v32
	v_mov_b64_e32 v[28:29], 0
	s_branch .LBB56_7
.LBB56_6:                               ;   in Loop: Header=BB56_7 Depth=2
	s_or_b64 exec, exec, s[4:5]
	v_cmp_le_i32_e32 vcc, v2, v3
	s_nop 1
	v_addc_co_u32_e32 v22, vcc, 0, v22, vcc
	v_cmp_ge_i32_e32 vcc, v2, v3
	s_nop 1
	v_addc_co_u32_e32 v24, vcc, 0, v24, vcc
	v_cmp_ge_i32_e32 vcc, v22, v31
	v_cmp_ge_i32_e64 s[4:5], v24, v21
	s_or_b64 s[4:5], vcc, s[4:5]
	s_and_b64 s[4:5], exec, s[4:5]
	s_or_b64 s[40:41], s[4:5], s[40:41]
	s_andn2_b64 exec, exec, s[40:41]
	s_cbranch_execz .LBB56_9
.LBB56_7:                               ;   Parent Loop BB56_4 Depth=1
                                        ; =>  This Inner Loop Header: Depth=2
	v_ashrrev_i32_e32 v23, 31, v22
	v_ashrrev_i32_e32 v25, 31, v24
	v_lshl_add_u64 v[2:3], v[22:23], 2, s[8:9]
	v_lshl_add_u64 v[4:5], v[24:25], 2, s[14:15]
	global_load_dword v2, v[2:3], off
	s_nop 0
	global_load_dword v3, v[4:5], off
	s_waitcnt vmcnt(0)
	v_cmp_eq_u32_e32 vcc, v2, v3
	s_and_saveexec_b64 s[4:5], vcc
	s_cbranch_execz .LBB56_6
; %bb.8:                                ;   in Loop: Header=BB56_7 Depth=2
	v_lshl_add_u64 v[4:5], v[24:25], 2, s[16:17]
	global_load_dword v4, v[4:5], off
	v_lshl_add_u64 v[36:37], v[22:23], 4, s[18:19]
	global_load_dwordx4 v[36:39], v[36:37], off
	s_waitcnt vmcnt(1)
	v_ashrrev_i32_e32 v5, 31, v4
	v_lshl_add_u64 v[4:5], v[4:5], 4, s[18:19]
	global_load_dwordx4 v[40:43], v[4:5], off
	s_waitcnt vmcnt(0)
	v_fmac_f64_e32 v[26:27], v[36:37], v[40:41]
	v_fmac_f64_e32 v[28:29], v[38:39], v[40:41]
	v_fma_f64 v[26:27], -v[38:39], v[42:43], v[26:27]
	v_fmac_f64_e32 v[28:29], v[36:37], v[42:43]
	s_branch .LBB56_6
.LBB56_9:                               ;   in Loop: Header=BB56_4 Depth=1
	s_or_b64 exec, exec, s[40:41]
.LBB56_10:                              ;   in Loop: Header=BB56_4 Depth=1
	s_or_b64 exec, exec, s[38:39]
	s_waitcnt vmcnt(1)
	v_add_f64 v[2:3], v[10:11], -v[26:27]
	v_add_f64 v[4:5], v[12:13], -v[28:29]
	v_cmp_gt_i32_e32 vcc, v14, v20
	s_and_saveexec_b64 s[4:5], vcc
	s_cbranch_execz .LBB56_12
; %bb.11:                               ;   in Loop: Header=BB56_4 Depth=1
	s_waitcnt vmcnt(0)
	v_mul_f64 v[36:37], v[8:9], v[8:9]
	v_fmac_f64_e32 v[36:37], v[6:7], v[6:7]
	v_div_scale_f64 v[38:39], s[38:39], v[36:37], v[36:37], 1.0
	v_rcp_f64_e32 v[40:41], v[38:39]
	v_div_scale_f64 v[42:43], vcc, 1.0, v[36:37], 1.0
	v_fma_f64 v[44:45], -v[38:39], v[40:41], 1.0
	v_fmac_f64_e32 v[40:41], v[40:41], v[44:45]
	v_fma_f64 v[44:45], -v[38:39], v[40:41], 1.0
	v_fmac_f64_e32 v[40:41], v[40:41], v[44:45]
	v_mul_f64 v[44:45], v[42:43], v[40:41]
	v_fma_f64 v[38:39], -v[38:39], v[44:45], v[42:43]
	v_div_fmas_f64 v[38:39], v[38:39], v[40:41], v[44:45]
	v_div_fixup_f64 v[36:37], v[38:39], v[36:37], 1.0
	v_mul_f64 v[38:39], v[8:9], v[4:5]
	v_fmac_f64_e32 v[38:39], v[2:3], v[6:7]
	v_mul_f64 v[2:3], v[8:9], -v[2:3]
	v_mul_f64 v[38:39], v[36:37], v[38:39]
	v_fmac_f64_e32 v[2:3], v[4:5], v[6:7]
	v_mul_f64 v[4:5], v[36:37], v[2:3]
	v_mov_b64_e32 v[2:3], v[38:39]
.LBB56_12:                              ;   in Loop: Header=BB56_4 Depth=1
	s_or_b64 exec, exec, s[4:5]
	v_add_f64 v[10:11], v[26:27], -v[10:11]
	v_add_f64 v[12:13], v[28:29], -v[12:13]
	v_cmp_lt_i32_e32 vcc, v24, v21
	s_and_saveexec_b64 s[4:5], vcc
	s_cbranch_execz .LBB56_20
; %bb.13:                               ;   in Loop: Header=BB56_4 Depth=1
	v_ashrrev_i32_e32 v25, 31, v24
	v_lshl_add_u64 v[26:27], v[24:25], 2, s[14:15]
	s_mov_b64 s[40:41], 0
                                        ; implicit-def: $sgpr38_sgpr39
                                        ; implicit-def: $sgpr44_sgpr45
                                        ; implicit-def: $sgpr42_sgpr43
	s_branch .LBB56_15
.LBB56_14:                              ;   in Loop: Header=BB56_15 Depth=2
	s_or_b64 exec, exec, s[46:47]
	s_and_b64 s[46:47], exec, s[44:45]
	s_or_b64 s[40:41], s[46:47], s[40:41]
	s_andn2_b64 s[38:39], s[38:39], exec
	s_and_b64 s[46:47], s[42:43], exec
	s_or_b64 s[38:39], s[38:39], s[46:47]
	s_andn2_b64 exec, exec, s[40:41]
	s_cbranch_execz .LBB56_17
.LBB56_15:                              ;   Parent Loop BB56_4 Depth=1
                                        ; =>  This Inner Loop Header: Depth=2
	global_load_dword v23, v[26:27], off
	v_mov_b64_e32 v[28:29], v[24:25]
	s_or_b64 s[42:43], s[42:43], exec
	s_or_b64 s[44:45], s[44:45], exec
                                        ; implicit-def: $vgpr24_vgpr25
	s_waitcnt vmcnt(0)
	v_subrev_u32_e32 v23, s33, v23
	v_cmp_ne_u32_e32 vcc, v23, v14
	s_and_saveexec_b64 s[46:47], vcc
	s_cbranch_execz .LBB56_14
; %bb.16:                               ;   in Loop: Header=BB56_15 Depth=2
	v_lshl_add_u64 v[24:25], v[28:29], 0, 1
	v_cmp_ge_i32_e32 vcc, v24, v21
	s_andn2_b64 s[44:45], s[44:45], exec
	s_and_b64 s[50:51], vcc, exec
	v_lshl_add_u64 v[26:27], v[26:27], 0, 4
	s_andn2_b64 s[42:43], s[42:43], exec
	s_or_b64 s[44:45], s[44:45], s[50:51]
	s_branch .LBB56_14
.LBB56_17:                              ;   in Loop: Header=BB56_4 Depth=1
	s_or_b64 exec, exec, s[40:41]
	s_and_saveexec_b64 s[40:41], s[38:39]
	s_xor_b64 s[38:39], exec, s[40:41]
	s_cbranch_execz .LBB56_19
; %bb.18:                               ;   in Loop: Header=BB56_4 Depth=1
	v_lshl_add_u64 v[24:25], v[28:29], 2, s[16:17]
	global_load_dword v24, v[24:25], off
	s_waitcnt vmcnt(0)
	v_ashrrev_i32_e32 v25, 31, v24
	v_lshl_add_u64 v[24:25], v[24:25], 4, s[18:19]
	global_load_dwordx4 v[24:27], v[24:25], off
	s_waitcnt vmcnt(0)
	v_add_f64 v[10:11], v[10:11], v[24:25]
	v_add_f64 v[12:13], v[12:13], v[26:27]
.LBB56_19:                              ;   in Loop: Header=BB56_4 Depth=1
	s_or_b64 exec, exec, s[38:39]
.LBB56_20:                              ;   in Loop: Header=BB56_4 Depth=1
	s_or_b64 exec, exec, s[4:5]
	v_cmp_lt_i32_e32 vcc, v22, v31
	s_and_saveexec_b64 s[4:5], vcc
	s_cbranch_execz .LBB56_28
; %bb.21:                               ;   in Loop: Header=BB56_4 Depth=1
	v_ashrrev_i32_e32 v23, 31, v22
	v_lshl_add_u64 v[24:25], v[22:23], 2, s[8:9]
	s_mov_b64 s[40:41], 0
                                        ; implicit-def: $sgpr38_sgpr39
                                        ; implicit-def: $sgpr44_sgpr45
                                        ; implicit-def: $sgpr42_sgpr43
	s_branch .LBB56_23
.LBB56_22:                              ;   in Loop: Header=BB56_23 Depth=2
	s_or_b64 exec, exec, s[46:47]
	s_and_b64 s[46:47], exec, s[44:45]
	s_or_b64 s[40:41], s[46:47], s[40:41]
	s_andn2_b64 s[38:39], s[38:39], exec
	s_and_b64 s[46:47], s[42:43], exec
	s_or_b64 s[38:39], s[38:39], s[46:47]
	s_andn2_b64 exec, exec, s[40:41]
	s_cbranch_execz .LBB56_25
.LBB56_23:                              ;   Parent Loop BB56_4 Depth=1
                                        ; =>  This Inner Loop Header: Depth=2
	global_load_dword v21, v[24:25], off
	v_mov_b64_e32 v[26:27], v[22:23]
	s_or_b64 s[42:43], s[42:43], exec
	s_or_b64 s[44:45], s[44:45], exec
                                        ; implicit-def: $vgpr22_vgpr23
	s_waitcnt vmcnt(0)
	v_cmp_ne_u32_e32 vcc, v21, v34
	s_and_saveexec_b64 s[46:47], vcc
	s_cbranch_execz .LBB56_22
; %bb.24:                               ;   in Loop: Header=BB56_23 Depth=2
	v_lshl_add_u64 v[22:23], v[26:27], 0, 1
	v_cmp_ge_i32_e32 vcc, v22, v31
	s_andn2_b64 s[44:45], s[44:45], exec
	s_and_b64 s[50:51], vcc, exec
	v_lshl_add_u64 v[24:25], v[24:25], 0, 4
	s_andn2_b64 s[42:43], s[42:43], exec
	s_or_b64 s[44:45], s[44:45], s[50:51]
	s_branch .LBB56_22
.LBB56_25:                              ;   in Loop: Header=BB56_4 Depth=1
	s_or_b64 exec, exec, s[40:41]
	s_and_saveexec_b64 s[40:41], s[38:39]
	s_xor_b64 s[38:39], exec, s[40:41]
	s_cbranch_execz .LBB56_27
; %bb.26:                               ;   in Loop: Header=BB56_4 Depth=1
	v_lshl_add_u64 v[22:23], v[26:27], 4, s[18:19]
	global_load_dwordx4 v[22:25], v[22:23], off
	s_waitcnt vmcnt(0)
	v_fmac_f64_e32 v[10:11], v[22:23], v[6:7]
	v_fmac_f64_e32 v[12:13], v[24:25], v[6:7]
	v_fma_f64 v[10:11], -v[24:25], v[8:9], v[10:11]
	v_fmac_f64_e32 v[12:13], v[22:23], v[8:9]
.LBB56_27:                              ;   in Loop: Header=BB56_4 Depth=1
	s_or_b64 exec, exec, s[38:39]
.LBB56_28:                              ;   in Loop: Header=BB56_4 Depth=1
	s_or_b64 exec, exec, s[4:5]
	s_waitcnt vmcnt(0)
	v_add_f64 v[6:7], v[6:7], v[10:11]
	v_add_f64 v[8:9], v[8:9], v[12:13]
	v_cmp_eq_u32_e32 vcc, v14, v20
	s_nop 1
	v_cndmask_b32_e32 v12, v12, v8, vcc
	v_cndmask_b32_e32 v8, v10, v6, vcc
	;; [unrolled: 1-line block ×4, first 2 shown]
	v_xor_b32_e32 v9, 0x80000000, v6
	v_cmp_lt_f64_e32 vcc, s[30:31], v[8:9]
	v_mov_b32_e32 v10, v12
	s_nop 0
	v_cndmask_b32_e32 v9, v6, v9, vcc
	v_xor_b32_e32 v6, 0x80000000, v13
	v_cmp_gt_f64_e32 vcc, 0, v[12:13]
	s_nop 1
	v_cndmask_b32_e32 v11, v13, v6, vcc
	v_cmp_ngt_f64_e32 vcc, v[8:9], v[10:11]
                                        ; implicit-def: $vgpr6_vgpr7
	s_and_saveexec_b64 s[4:5], vcc
	s_xor_b64 s[4:5], exec, s[4:5]
	s_cbranch_execz .LBB56_32
; %bb.29:                               ;   in Loop: Header=BB56_4 Depth=1
	v_mov_b64_e32 v[6:7], 0
	v_cmp_neq_f64_e32 vcc, 0, v[12:13]
	s_and_saveexec_b64 s[38:39], vcc
	s_cbranch_execz .LBB56_31
; %bb.30:                               ;   in Loop: Header=BB56_4 Depth=1
	v_div_scale_f64 v[6:7], s[40:41], v[10:11], v[10:11], v[8:9]
	v_rcp_f64_e32 v[12:13], v[6:7]
	v_div_scale_f64 v[20:21], vcc, v[8:9], v[10:11], v[8:9]
	v_fma_f64 v[22:23], -v[6:7], v[12:13], 1.0
	v_fmac_f64_e32 v[12:13], v[12:13], v[22:23]
	v_fma_f64 v[22:23], -v[6:7], v[12:13], 1.0
	v_fmac_f64_e32 v[12:13], v[12:13], v[22:23]
	v_mul_f64 v[22:23], v[20:21], v[12:13]
	v_fma_f64 v[6:7], -v[6:7], v[22:23], v[20:21]
	v_div_fmas_f64 v[6:7], v[6:7], v[12:13], v[22:23]
	v_div_fixup_f64 v[6:7], v[6:7], v[10:11], v[8:9]
	v_fma_f64 v[6:7], v[6:7], v[6:7], 1.0
	v_cmp_gt_f64_e32 vcc, s[34:35], v[6:7]
	s_nop 1
	v_cndmask_b32_e32 v8, 0, v15, vcc
	v_ldexp_f64 v[6:7], v[6:7], v8
	v_rsq_f64_e32 v[8:9], v[6:7]
	s_nop 0
	v_mul_f64 v[12:13], v[6:7], v[8:9]
	v_mul_f64 v[8:9], v[8:9], 0.5
	v_fma_f64 v[20:21], -v[8:9], v[12:13], 0.5
	v_fmac_f64_e32 v[12:13], v[12:13], v[20:21]
	v_fma_f64 v[22:23], -v[12:13], v[12:13], v[6:7]
	v_fmac_f64_e32 v[8:9], v[8:9], v[20:21]
	v_fmac_f64_e32 v[12:13], v[22:23], v[8:9]
	v_fma_f64 v[20:21], -v[12:13], v[12:13], v[6:7]
	v_fmac_f64_e32 v[12:13], v[20:21], v[8:9]
	v_cndmask_b32_e32 v8, 0, v33, vcc
	v_ldexp_f64 v[8:9], v[12:13], v8
	v_cmp_class_f64_e32 vcc, v[6:7], v1
	s_nop 1
	v_cndmask_b32_e32 v7, v9, v7, vcc
	v_cndmask_b32_e32 v6, v8, v6, vcc
	v_mul_f64 v[6:7], v[10:11], v[6:7]
.LBB56_31:                              ;   in Loop: Header=BB56_4 Depth=1
	s_or_b64 exec, exec, s[38:39]
                                        ; implicit-def: $vgpr8_vgpr9
                                        ; implicit-def: $vgpr10_vgpr11
.LBB56_32:                              ;   in Loop: Header=BB56_4 Depth=1
	s_andn2_saveexec_b64 s[4:5], s[4:5]
	s_cbranch_execz .LBB56_34
; %bb.33:                               ;   in Loop: Header=BB56_4 Depth=1
	v_div_scale_f64 v[6:7], s[38:39], v[8:9], v[8:9], v[10:11]
	v_rcp_f64_e32 v[12:13], v[6:7]
	v_div_scale_f64 v[20:21], vcc, v[10:11], v[8:9], v[10:11]
	v_fma_f64 v[22:23], -v[6:7], v[12:13], 1.0
	v_fmac_f64_e32 v[12:13], v[12:13], v[22:23]
	v_fma_f64 v[22:23], -v[6:7], v[12:13], 1.0
	v_fmac_f64_e32 v[12:13], v[12:13], v[22:23]
	v_mul_f64 v[22:23], v[20:21], v[12:13]
	v_fma_f64 v[6:7], -v[6:7], v[22:23], v[20:21]
	v_div_fmas_f64 v[6:7], v[6:7], v[12:13], v[22:23]
	v_div_fixup_f64 v[6:7], v[6:7], v[8:9], v[10:11]
	v_fma_f64 v[6:7], v[6:7], v[6:7], 1.0
	v_cmp_gt_f64_e32 vcc, s[34:35], v[6:7]
	s_nop 1
	v_cndmask_b32_e32 v10, 0, v15, vcc
	v_ldexp_f64 v[6:7], v[6:7], v10
	v_rsq_f64_e32 v[10:11], v[6:7]
	s_nop 0
	v_mul_f64 v[12:13], v[6:7], v[10:11]
	v_mul_f64 v[10:11], v[10:11], 0.5
	v_fma_f64 v[20:21], -v[10:11], v[12:13], 0.5
	v_fmac_f64_e32 v[12:13], v[12:13], v[20:21]
	v_fma_f64 v[22:23], -v[12:13], v[12:13], v[6:7]
	v_fmac_f64_e32 v[10:11], v[10:11], v[20:21]
	v_fmac_f64_e32 v[12:13], v[22:23], v[10:11]
	v_fma_f64 v[20:21], -v[12:13], v[12:13], v[6:7]
	v_fmac_f64_e32 v[12:13], v[20:21], v[10:11]
	v_cndmask_b32_e32 v10, 0, v33, vcc
	v_ldexp_f64 v[10:11], v[12:13], v10
	v_cmp_class_f64_e32 vcc, v[6:7], v1
	s_nop 1
	v_cndmask_b32_e32 v7, v11, v7, vcc
	v_cndmask_b32_e32 v6, v10, v6, vcc
	v_mul_f64 v[6:7], v[8:9], v[6:7]
.LBB56_34:                              ;   in Loop: Header=BB56_4 Depth=1
	s_or_b64 exec, exec, s[4:5]
	v_xor_b32_e32 v8, 0x80000000, v3
	v_cmp_gt_f64_e32 vcc, 0, v[2:3]
	v_xor_b32_e32 v10, 0x80000000, v5
                                        ; implicit-def: $vgpr12_vgpr13
	s_nop 0
	v_cndmask_b32_e32 v9, v3, v8, vcc
	v_cmp_gt_f64_e32 vcc, 0, v[4:5]
	v_mov_b32_e32 v8, v2
	s_nop 0
	v_cndmask_b32_e32 v11, v5, v10, vcc
	v_mov_b32_e32 v10, v4
	v_cmp_ngt_f64_e32 vcc, v[8:9], v[10:11]
	s_and_saveexec_b64 s[4:5], vcc
	s_xor_b64 s[4:5], exec, s[4:5]
	s_cbranch_execnz .LBB56_37
; %bb.35:                               ;   in Loop: Header=BB56_4 Depth=1
	s_andn2_saveexec_b64 s[4:5], s[4:5]
	s_cbranch_execnz .LBB56_40
.LBB56_36:                              ;   in Loop: Header=BB56_4 Depth=1
	s_or_b64 exec, exec, s[4:5]
	v_cmp_class_f64_e64 s[38:39], v[12:13], s48
	s_and_saveexec_b64 s[4:5], s[38:39]
	s_cbranch_execz .LBB56_3
	s_branch .LBB56_41
.LBB56_37:                              ;   in Loop: Header=BB56_4 Depth=1
	v_mov_b64_e32 v[12:13], 0
	v_cmp_neq_f64_e32 vcc, 0, v[4:5]
	s_and_saveexec_b64 s[38:39], vcc
	s_cbranch_execz .LBB56_39
; %bb.38:                               ;   in Loop: Header=BB56_4 Depth=1
	v_div_scale_f64 v[12:13], s[40:41], v[10:11], v[10:11], v[8:9]
	v_rcp_f64_e32 v[20:21], v[12:13]
	v_div_scale_f64 v[22:23], vcc, v[8:9], v[10:11], v[8:9]
	v_fma_f64 v[24:25], -v[12:13], v[20:21], 1.0
	v_fmac_f64_e32 v[20:21], v[20:21], v[24:25]
	v_fma_f64 v[24:25], -v[12:13], v[20:21], 1.0
	v_fmac_f64_e32 v[20:21], v[20:21], v[24:25]
	v_mul_f64 v[24:25], v[22:23], v[20:21]
	v_fma_f64 v[12:13], -v[12:13], v[24:25], v[22:23]
	v_div_fmas_f64 v[12:13], v[12:13], v[20:21], v[24:25]
	v_div_fixup_f64 v[8:9], v[12:13], v[10:11], v[8:9]
	v_fma_f64 v[8:9], v[8:9], v[8:9], 1.0
	v_cmp_gt_f64_e32 vcc, s[34:35], v[8:9]
	s_nop 1
	v_cndmask_b32_e32 v12, 0, v15, vcc
	v_ldexp_f64 v[8:9], v[8:9], v12
	v_rsq_f64_e32 v[12:13], v[8:9]
	s_nop 0
	v_mul_f64 v[20:21], v[8:9], v[12:13]
	v_mul_f64 v[12:13], v[12:13], 0.5
	v_fma_f64 v[22:23], -v[12:13], v[20:21], 0.5
	v_fmac_f64_e32 v[20:21], v[20:21], v[22:23]
	v_fma_f64 v[24:25], -v[20:21], v[20:21], v[8:9]
	v_fmac_f64_e32 v[12:13], v[12:13], v[22:23]
	v_fmac_f64_e32 v[20:21], v[24:25], v[12:13]
	v_fma_f64 v[22:23], -v[20:21], v[20:21], v[8:9]
	v_fmac_f64_e32 v[20:21], v[22:23], v[12:13]
	v_cndmask_b32_e32 v12, 0, v33, vcc
	v_ldexp_f64 v[12:13], v[20:21], v12
	v_cmp_class_f64_e32 vcc, v[8:9], v1
	s_nop 1
	v_cndmask_b32_e32 v9, v13, v9, vcc
	v_cndmask_b32_e32 v8, v12, v8, vcc
	v_mul_f64 v[12:13], v[10:11], v[8:9]
.LBB56_39:                              ;   in Loop: Header=BB56_4 Depth=1
	s_or_b64 exec, exec, s[38:39]
                                        ; implicit-def: $vgpr8_vgpr9
                                        ; implicit-def: $vgpr10_vgpr11
	s_andn2_saveexec_b64 s[4:5], s[4:5]
	s_cbranch_execz .LBB56_36
.LBB56_40:                              ;   in Loop: Header=BB56_4 Depth=1
	v_div_scale_f64 v[12:13], s[38:39], v[8:9], v[8:9], v[10:11]
	v_rcp_f64_e32 v[20:21], v[12:13]
	v_div_scale_f64 v[22:23], vcc, v[10:11], v[8:9], v[10:11]
	v_fma_f64 v[24:25], -v[12:13], v[20:21], 1.0
	v_fmac_f64_e32 v[20:21], v[20:21], v[24:25]
	v_fma_f64 v[24:25], -v[12:13], v[20:21], 1.0
	v_fmac_f64_e32 v[20:21], v[20:21], v[24:25]
	v_mul_f64 v[24:25], v[22:23], v[20:21]
	v_fma_f64 v[12:13], -v[12:13], v[24:25], v[22:23]
	v_div_fmas_f64 v[12:13], v[12:13], v[20:21], v[24:25]
	v_div_fixup_f64 v[10:11], v[12:13], v[8:9], v[10:11]
	v_fma_f64 v[10:11], v[10:11], v[10:11], 1.0
	v_cmp_gt_f64_e32 vcc, s[34:35], v[10:11]
	s_nop 1
	v_cndmask_b32_e32 v12, 0, v15, vcc
	v_ldexp_f64 v[10:11], v[10:11], v12
	v_rsq_f64_e32 v[12:13], v[10:11]
	s_nop 0
	v_mul_f64 v[20:21], v[10:11], v[12:13]
	v_mul_f64 v[12:13], v[12:13], 0.5
	v_fma_f64 v[22:23], -v[12:13], v[20:21], 0.5
	v_fmac_f64_e32 v[20:21], v[20:21], v[22:23]
	v_fma_f64 v[24:25], -v[20:21], v[20:21], v[10:11]
	v_fmac_f64_e32 v[12:13], v[12:13], v[22:23]
	v_fmac_f64_e32 v[20:21], v[24:25], v[12:13]
	v_fma_f64 v[22:23], -v[20:21], v[20:21], v[10:11]
	v_fmac_f64_e32 v[20:21], v[22:23], v[12:13]
	v_cndmask_b32_e32 v12, 0, v33, vcc
	v_ldexp_f64 v[12:13], v[20:21], v12
	v_cmp_class_f64_e32 vcc, v[10:11], v1
	s_nop 1
	v_cndmask_b32_e32 v11, v13, v11, vcc
	v_cndmask_b32_e32 v10, v12, v10, vcc
	v_mul_f64 v[12:13], v[8:9], v[10:11]
	s_or_b64 exec, exec, s[4:5]
	v_cmp_class_f64_e64 s[38:39], v[12:13], s48
	s_and_saveexec_b64 s[4:5], s[38:39]
	s_cbranch_execz .LBB56_3
.LBB56_41:                              ;   in Loop: Header=BB56_4 Depth=1
	v_lshl_add_u64 v[8:9], v[18:19], 4, s[18:19]
	global_store_dwordx4 v[8:9], v[2:5], off
	s_branch .LBB56_3
.LBB56_42:
	s_or_b64 exec, exec, s[28:29]
.LBB56_43:
	s_or_b64 exec, exec, s[26:27]
.LBB56_44:
	s_or_b64 exec, exec, s[24:25]
	s_movk_i32 s2, 0x200
	v_lshlrev_b32_e32 v1, 3, v0
	v_cmp_gt_u32_e32 vcc, s2, v0
	ds_write_b64 v1, v[16:17]
	s_waitcnt lgkmcnt(0)
	s_barrier
	s_and_saveexec_b64 s[2:3], vcc
	s_cbranch_execz .LBB56_46
; %bb.45:
	ds_read2st64_b64 v[2:5], v1 offset1:8
	s_waitcnt lgkmcnt(0)
	v_cmp_lt_f64_e32 vcc, v[2:3], v[4:5]
	s_nop 1
	v_cndmask_b32_e32 v3, v3, v5, vcc
	v_cndmask_b32_e32 v2, v2, v4, vcc
	ds_write_b64 v1, v[2:3]
.LBB56_46:
	s_or_b64 exec, exec, s[2:3]
	s_movk_i32 s2, 0x100
	v_cmp_gt_u32_e32 vcc, s2, v0
	s_waitcnt lgkmcnt(0)
	s_barrier
	s_and_saveexec_b64 s[2:3], vcc
	s_cbranch_execz .LBB56_48
; %bb.47:
	ds_read2st64_b64 v[2:5], v1 offset1:4
	s_waitcnt lgkmcnt(0)
	v_cmp_lt_f64_e32 vcc, v[2:3], v[4:5]
	s_nop 1
	v_cndmask_b32_e32 v3, v3, v5, vcc
	v_cndmask_b32_e32 v2, v2, v4, vcc
	ds_write_b64 v1, v[2:3]
.LBB56_48:
	s_or_b64 exec, exec, s[2:3]
	s_movk_i32 s2, 0x80
	v_cmp_gt_u32_e32 vcc, s2, v0
	s_waitcnt lgkmcnt(0)
	s_barrier
	s_and_saveexec_b64 s[2:3], vcc
	s_cbranch_execz .LBB56_50
; %bb.49:
	ds_read2st64_b64 v[2:5], v1 offset1:2
	s_waitcnt lgkmcnt(0)
	v_cmp_lt_f64_e32 vcc, v[2:3], v[4:5]
	s_nop 1
	v_cndmask_b32_e32 v3, v3, v5, vcc
	v_cndmask_b32_e32 v2, v2, v4, vcc
	ds_write_b64 v1, v[2:3]
.LBB56_50:
	s_or_b64 exec, exec, s[2:3]
	v_cmp_gt_u32_e32 vcc, 64, v0
	s_waitcnt lgkmcnt(0)
	s_barrier
	s_and_saveexec_b64 s[2:3], vcc
	s_cbranch_execz .LBB56_52
; %bb.51:
	ds_read2st64_b64 v[2:5], v1 offset1:1
	s_waitcnt lgkmcnt(0)
	v_cmp_lt_f64_e32 vcc, v[2:3], v[4:5]
	s_nop 1
	v_cndmask_b32_e32 v3, v3, v5, vcc
	v_cndmask_b32_e32 v2, v2, v4, vcc
	ds_write_b64 v1, v[2:3]
.LBB56_52:
	s_or_b64 exec, exec, s[2:3]
	v_cmp_gt_u32_e32 vcc, 32, v0
	s_waitcnt lgkmcnt(0)
	s_barrier
	s_and_saveexec_b64 s[2:3], vcc
	s_cbranch_execz .LBB56_54
; %bb.53:
	ds_read2_b64 v[2:5], v1 offset1:32
	s_waitcnt lgkmcnt(0)
	v_cmp_lt_f64_e32 vcc, v[2:3], v[4:5]
	s_nop 1
	v_cndmask_b32_e32 v3, v3, v5, vcc
	v_cndmask_b32_e32 v2, v2, v4, vcc
	ds_write_b64 v1, v[2:3]
.LBB56_54:
	s_or_b64 exec, exec, s[2:3]
	v_cmp_gt_u32_e32 vcc, 16, v0
	s_waitcnt lgkmcnt(0)
	s_barrier
	s_and_saveexec_b64 s[2:3], vcc
	s_cbranch_execz .LBB56_56
; %bb.55:
	ds_read2_b64 v[2:5], v1 offset1:16
	s_waitcnt lgkmcnt(0)
	v_cmp_lt_f64_e32 vcc, v[2:3], v[4:5]
	s_nop 1
	v_cndmask_b32_e32 v3, v3, v5, vcc
	v_cndmask_b32_e32 v2, v2, v4, vcc
	ds_write_b64 v1, v[2:3]
.LBB56_56:
	s_or_b64 exec, exec, s[2:3]
	v_cmp_gt_u32_e32 vcc, 8, v0
	s_waitcnt lgkmcnt(0)
	s_barrier
	s_and_saveexec_b64 s[2:3], vcc
	s_cbranch_execz .LBB56_58
; %bb.57:
	ds_read2_b64 v[2:5], v1 offset1:8
	s_waitcnt lgkmcnt(0)
	v_cmp_lt_f64_e32 vcc, v[2:3], v[4:5]
	s_nop 1
	v_cndmask_b32_e32 v3, v3, v5, vcc
	v_cndmask_b32_e32 v2, v2, v4, vcc
	ds_write_b64 v1, v[2:3]
.LBB56_58:
	s_or_b64 exec, exec, s[2:3]
	v_cmp_gt_u32_e32 vcc, 4, v0
	s_waitcnt lgkmcnt(0)
	s_barrier
	s_and_saveexec_b64 s[2:3], vcc
	s_cbranch_execz .LBB56_60
; %bb.59:
	ds_read2_b64 v[2:5], v1 offset1:4
	s_waitcnt lgkmcnt(0)
	v_cmp_lt_f64_e32 vcc, v[2:3], v[4:5]
	s_nop 1
	v_cndmask_b32_e32 v3, v3, v5, vcc
	v_cndmask_b32_e32 v2, v2, v4, vcc
	ds_write_b64 v1, v[2:3]
.LBB56_60:
	s_or_b64 exec, exec, s[2:3]
	v_cmp_gt_u32_e32 vcc, 2, v0
	s_waitcnt lgkmcnt(0)
	s_barrier
	s_and_saveexec_b64 s[2:3], vcc
	s_cbranch_execz .LBB56_62
; %bb.61:
	ds_read2_b64 v[2:5], v1 offset1:2
	s_waitcnt lgkmcnt(0)
	v_cmp_lt_f64_e32 vcc, v[2:3], v[4:5]
	s_nop 1
	v_cndmask_b32_e32 v3, v3, v5, vcc
	v_cndmask_b32_e32 v2, v2, v4, vcc
	ds_write_b64 v1, v[2:3]
.LBB56_62:
	s_or_b64 exec, exec, s[2:3]
	v_cmp_eq_u32_e32 vcc, 0, v0
	s_waitcnt lgkmcnt(0)
	s_barrier
	s_and_saveexec_b64 s[4:5], vcc
	s_cbranch_execz .LBB56_64
; %bb.63:
	v_mov_b32_e32 v4, 0
	ds_read_b128 v[0:3], v4
	s_waitcnt lgkmcnt(0)
	v_cmp_lt_f64_e64 s[2:3], v[0:1], v[2:3]
	s_nop 1
	v_cndmask_b32_e64 v1, v1, v3, s[2:3]
	v_cndmask_b32_e64 v0, v0, v2, s[2:3]
	ds_write_b64 v4, v[0:1]
.LBB56_64:
	s_or_b64 exec, exec, s[4:5]
	s_waitcnt lgkmcnt(0)
	s_barrier
	s_and_saveexec_b64 s[2:3], vcc
	s_cbranch_execz .LBB56_67
; %bb.65:
	v_mbcnt_lo_u32_b32 v0, exec_lo, 0
	v_mbcnt_hi_u32_b32 v0, exec_hi, v0
	v_cmp_eq_u32_e32 vcc, 0, v0
	s_and_b64 exec, exec, vcc
	s_cbranch_execz .LBB56_67
; %bb.66:
	s_load_dwordx4 s[0:3], s[0:1], 0x70
	v_mov_b32_e32 v10, 0
	ds_read_b64 v[0:1], v10
	s_waitcnt lgkmcnt(0)
	s_load_dwordx2 s[2:3], s[2:3], 0x0
	s_waitcnt lgkmcnt(0)
	v_div_scale_f64 v[2:3], s[4:5], s[2:3], s[2:3], v[0:1]
	v_rcp_f64_e32 v[4:5], v[2:3]
	v_div_scale_f64 v[6:7], vcc, v[0:1], s[2:3], v[0:1]
	v_fma_f64 v[8:9], -v[2:3], v[4:5], 1.0
	v_fmac_f64_e32 v[4:5], v[4:5], v[8:9]
	v_fma_f64 v[8:9], -v[2:3], v[4:5], 1.0
	v_fmac_f64_e32 v[4:5], v[4:5], v[8:9]
	v_mul_f64 v[8:9], v[6:7], v[4:5]
	v_fma_f64 v[2:3], -v[2:3], v[8:9], v[6:7]
	v_div_fmas_f64 v[2:3], v[2:3], v[4:5], v[8:9]
	v_div_fixup_f64 v[0:1], v[2:3], s[2:3], v[0:1]
	global_atomic_max_f64 v10, v[0:1], s[0:1]
.LBB56_67:
	s_endpgm
	.section	.rodata,"a",@progbits
	.p2align	6, 0x0
	.amdhsa_kernel _ZN9rocsparseL16kernel_calculateILi1024ELi1ELb1E21rocsparse_complex_numIdEiiEEvT4_T3_PKS4_S6_PKS3_PKT2_21rocsparse_index_base_S6_S6_S8_S6_S6_S8_S6_PS9_PNS_15floating_traitsIS9_E6data_tEPKSG_
		.amdhsa_group_segment_fixed_size 8192
		.amdhsa_private_segment_fixed_size 0
		.amdhsa_kernarg_size 128
		.amdhsa_user_sgpr_count 2
		.amdhsa_user_sgpr_dispatch_ptr 0
		.amdhsa_user_sgpr_queue_ptr 0
		.amdhsa_user_sgpr_kernarg_segment_ptr 1
		.amdhsa_user_sgpr_dispatch_id 0
		.amdhsa_user_sgpr_kernarg_preload_length 0
		.amdhsa_user_sgpr_kernarg_preload_offset 0
		.amdhsa_user_sgpr_private_segment_size 0
		.amdhsa_uses_dynamic_stack 0
		.amdhsa_enable_private_segment 0
		.amdhsa_system_sgpr_workgroup_id_x 1
		.amdhsa_system_sgpr_workgroup_id_y 0
		.amdhsa_system_sgpr_workgroup_id_z 0
		.amdhsa_system_sgpr_workgroup_info 0
		.amdhsa_system_vgpr_workitem_id 0
		.amdhsa_next_free_vgpr 46
		.amdhsa_next_free_sgpr 52
		.amdhsa_accum_offset 48
		.amdhsa_reserve_vcc 1
		.amdhsa_float_round_mode_32 0
		.amdhsa_float_round_mode_16_64 0
		.amdhsa_float_denorm_mode_32 3
		.amdhsa_float_denorm_mode_16_64 3
		.amdhsa_dx10_clamp 1
		.amdhsa_ieee_mode 1
		.amdhsa_fp16_overflow 0
		.amdhsa_tg_split 0
		.amdhsa_exception_fp_ieee_invalid_op 0
		.amdhsa_exception_fp_denorm_src 0
		.amdhsa_exception_fp_ieee_div_zero 0
		.amdhsa_exception_fp_ieee_overflow 0
		.amdhsa_exception_fp_ieee_underflow 0
		.amdhsa_exception_fp_ieee_inexact 0
		.amdhsa_exception_int_div_zero 0
	.end_amdhsa_kernel
	.section	.text._ZN9rocsparseL16kernel_calculateILi1024ELi1ELb1E21rocsparse_complex_numIdEiiEEvT4_T3_PKS4_S6_PKS3_PKT2_21rocsparse_index_base_S6_S6_S8_S6_S6_S8_S6_PS9_PNS_15floating_traitsIS9_E6data_tEPKSG_,"axG",@progbits,_ZN9rocsparseL16kernel_calculateILi1024ELi1ELb1E21rocsparse_complex_numIdEiiEEvT4_T3_PKS4_S6_PKS3_PKT2_21rocsparse_index_base_S6_S6_S8_S6_S6_S8_S6_PS9_PNS_15floating_traitsIS9_E6data_tEPKSG_,comdat
.Lfunc_end56:
	.size	_ZN9rocsparseL16kernel_calculateILi1024ELi1ELb1E21rocsparse_complex_numIdEiiEEvT4_T3_PKS4_S6_PKS3_PKT2_21rocsparse_index_base_S6_S6_S8_S6_S6_S8_S6_PS9_PNS_15floating_traitsIS9_E6data_tEPKSG_, .Lfunc_end56-_ZN9rocsparseL16kernel_calculateILi1024ELi1ELb1E21rocsparse_complex_numIdEiiEEvT4_T3_PKS4_S6_PKS3_PKT2_21rocsparse_index_base_S6_S6_S8_S6_S6_S8_S6_PS9_PNS_15floating_traitsIS9_E6data_tEPKSG_
                                        ; -- End function
	.set _ZN9rocsparseL16kernel_calculateILi1024ELi1ELb1E21rocsparse_complex_numIdEiiEEvT4_T3_PKS4_S6_PKS3_PKT2_21rocsparse_index_base_S6_S6_S8_S6_S6_S8_S6_PS9_PNS_15floating_traitsIS9_E6data_tEPKSG_.num_vgpr, 46
	.set _ZN9rocsparseL16kernel_calculateILi1024ELi1ELb1E21rocsparse_complex_numIdEiiEEvT4_T3_PKS4_S6_PKS3_PKT2_21rocsparse_index_base_S6_S6_S8_S6_S6_S8_S6_PS9_PNS_15floating_traitsIS9_E6data_tEPKSG_.num_agpr, 0
	.set _ZN9rocsparseL16kernel_calculateILi1024ELi1ELb1E21rocsparse_complex_numIdEiiEEvT4_T3_PKS4_S6_PKS3_PKT2_21rocsparse_index_base_S6_S6_S8_S6_S6_S8_S6_PS9_PNS_15floating_traitsIS9_E6data_tEPKSG_.numbered_sgpr, 52
	.set _ZN9rocsparseL16kernel_calculateILi1024ELi1ELb1E21rocsparse_complex_numIdEiiEEvT4_T3_PKS4_S6_PKS3_PKT2_21rocsparse_index_base_S6_S6_S8_S6_S6_S8_S6_PS9_PNS_15floating_traitsIS9_E6data_tEPKSG_.num_named_barrier, 0
	.set _ZN9rocsparseL16kernel_calculateILi1024ELi1ELb1E21rocsparse_complex_numIdEiiEEvT4_T3_PKS4_S6_PKS3_PKT2_21rocsparse_index_base_S6_S6_S8_S6_S6_S8_S6_PS9_PNS_15floating_traitsIS9_E6data_tEPKSG_.private_seg_size, 0
	.set _ZN9rocsparseL16kernel_calculateILi1024ELi1ELb1E21rocsparse_complex_numIdEiiEEvT4_T3_PKS4_S6_PKS3_PKT2_21rocsparse_index_base_S6_S6_S8_S6_S6_S8_S6_PS9_PNS_15floating_traitsIS9_E6data_tEPKSG_.uses_vcc, 1
	.set _ZN9rocsparseL16kernel_calculateILi1024ELi1ELb1E21rocsparse_complex_numIdEiiEEvT4_T3_PKS4_S6_PKS3_PKT2_21rocsparse_index_base_S6_S6_S8_S6_S6_S8_S6_PS9_PNS_15floating_traitsIS9_E6data_tEPKSG_.uses_flat_scratch, 0
	.set _ZN9rocsparseL16kernel_calculateILi1024ELi1ELb1E21rocsparse_complex_numIdEiiEEvT4_T3_PKS4_S6_PKS3_PKT2_21rocsparse_index_base_S6_S6_S8_S6_S6_S8_S6_PS9_PNS_15floating_traitsIS9_E6data_tEPKSG_.has_dyn_sized_stack, 0
	.set _ZN9rocsparseL16kernel_calculateILi1024ELi1ELb1E21rocsparse_complex_numIdEiiEEvT4_T3_PKS4_S6_PKS3_PKT2_21rocsparse_index_base_S6_S6_S8_S6_S6_S8_S6_PS9_PNS_15floating_traitsIS9_E6data_tEPKSG_.has_recursion, 0
	.set _ZN9rocsparseL16kernel_calculateILi1024ELi1ELb1E21rocsparse_complex_numIdEiiEEvT4_T3_PKS4_S6_PKS3_PKT2_21rocsparse_index_base_S6_S6_S8_S6_S6_S8_S6_PS9_PNS_15floating_traitsIS9_E6data_tEPKSG_.has_indirect_call, 0
	.section	.AMDGPU.csdata,"",@progbits
; Kernel info:
; codeLenInByte = 3296
; TotalNumSgprs: 58
; NumVgprs: 46
; NumAgprs: 0
; TotalNumVgprs: 46
; ScratchSize: 0
; MemoryBound: 1
; FloatMode: 240
; IeeeMode: 1
; LDSByteSize: 8192 bytes/workgroup (compile time only)
; SGPRBlocks: 7
; VGPRBlocks: 5
; NumSGPRsForWavesPerEU: 58
; NumVGPRsForWavesPerEU: 46
; AccumOffset: 48
; Occupancy: 8
; WaveLimiterHint : 1
; COMPUTE_PGM_RSRC2:SCRATCH_EN: 0
; COMPUTE_PGM_RSRC2:USER_SGPR: 2
; COMPUTE_PGM_RSRC2:TRAP_HANDLER: 0
; COMPUTE_PGM_RSRC2:TGID_X_EN: 1
; COMPUTE_PGM_RSRC2:TGID_Y_EN: 0
; COMPUTE_PGM_RSRC2:TGID_Z_EN: 0
; COMPUTE_PGM_RSRC2:TIDIG_COMP_CNT: 0
; COMPUTE_PGM_RSRC3_GFX90A:ACCUM_OFFSET: 11
; COMPUTE_PGM_RSRC3_GFX90A:TG_SPLIT: 0
	.section	.text._ZN9rocsparseL16kernel_calculateILi1024ELi2ELb1E21rocsparse_complex_numIdEiiEEvT4_T3_PKS4_S6_PKS3_PKT2_21rocsparse_index_base_S6_S6_S8_S6_S6_S8_S6_PS9_PNS_15floating_traitsIS9_E6data_tEPKSG_,"axG",@progbits,_ZN9rocsparseL16kernel_calculateILi1024ELi2ELb1E21rocsparse_complex_numIdEiiEEvT4_T3_PKS4_S6_PKS3_PKT2_21rocsparse_index_base_S6_S6_S8_S6_S6_S8_S6_PS9_PNS_15floating_traitsIS9_E6data_tEPKSG_,comdat
	.globl	_ZN9rocsparseL16kernel_calculateILi1024ELi2ELb1E21rocsparse_complex_numIdEiiEEvT4_T3_PKS4_S6_PKS3_PKT2_21rocsparse_index_base_S6_S6_S8_S6_S6_S8_S6_PS9_PNS_15floating_traitsIS9_E6data_tEPKSG_ ; -- Begin function _ZN9rocsparseL16kernel_calculateILi1024ELi2ELb1E21rocsparse_complex_numIdEiiEEvT4_T3_PKS4_S6_PKS3_PKT2_21rocsparse_index_base_S6_S6_S8_S6_S6_S8_S6_PS9_PNS_15floating_traitsIS9_E6data_tEPKSG_
	.p2align	8
	.type	_ZN9rocsparseL16kernel_calculateILi1024ELi2ELb1E21rocsparse_complex_numIdEiiEEvT4_T3_PKS4_S6_PKS3_PKT2_21rocsparse_index_base_S6_S6_S8_S6_S6_S8_S6_PS9_PNS_15floating_traitsIS9_E6data_tEPKSG_,@function
_ZN9rocsparseL16kernel_calculateILi1024ELi2ELb1E21rocsparse_complex_numIdEiiEEvT4_T3_PKS4_S6_PKS3_PKT2_21rocsparse_index_base_S6_S6_S8_S6_S6_S8_S6_PS9_PNS_15floating_traitsIS9_E6data_tEPKSG_: ; @_ZN9rocsparseL16kernel_calculateILi1024ELi2ELb1E21rocsparse_complex_numIdEiiEEvT4_T3_PKS4_S6_PKS3_PKT2_21rocsparse_index_base_S6_S6_S8_S6_S6_S8_S6_PS9_PNS_15floating_traitsIS9_E6data_tEPKSG_
; %bb.0:
	s_load_dword s33, s[0:1], 0x0
	v_lshrrev_b32_e32 v1, 1, v0
	v_lshl_or_b32 v31, s2, 10, v1
	v_and_b32_e32 v30, 1, v0
	v_mov_b64_e32 v[14:15], 0
	s_waitcnt lgkmcnt(0)
	v_cmp_gt_i32_e32 vcc, s33, v31
	s_and_saveexec_b64 s[6:7], vcc
	s_cbranch_execz .LBB57_47
; %bb.1:
	s_load_dword s58, s[0:1], 0x28
	s_load_dwordx8 s[8:15], s[0:1], 0x50
	s_load_dwordx8 s[16:23], s[0:1], 0x30
	;; [unrolled: 1-line block ×3, first 2 shown]
	s_mov_b32 s34, 0
	s_mov_b32 s36, 0
	;; [unrolled: 1-line block ×3, first 2 shown]
	v_mov_b64_e32 v[14:15], 0
	s_waitcnt lgkmcnt(0)
	v_subrev_u32_e32 v32, s58, v30
	s_mov_b32 s2, 0
	s_mov_b64 s[40:41], -1
	s_brev_b32 s35, 1
	s_brev_b32 s37, 8
	v_mov_b32_e32 v33, 0x260
	s_movk_i32 s59, 0x1f8
	s_mov_b32 s39, 0x7ff00000
	v_mov_b32_e32 v34, 0x100
	v_mov_b32_e32 v35, 0xffffff80
	s_branch .LBB57_5
.LBB57_2:                               ;   in Loop: Header=BB57_5 Depth=1
	s_or_b64 exec, exec, s[46:47]
.LBB57_3:                               ;   in Loop: Header=BB57_5 Depth=1
	s_or_b64 exec, exec, s[44:45]
.LBB57_4:                               ;   in Loop: Header=BB57_5 Depth=1
	s_or_b64 exec, exec, s[42:43]
	s_xor_b64 s[4:5], s[40:41], -1
	s_movk_i32 s2, 0x200
	s_andn2_b64 vcc, exec, s[4:5]
	s_mov_b64 s[40:41], 0
	s_cbranch_vccz .LBB57_47
.LBB57_5:                               ; =>This Loop Header: Depth=1
                                        ;     Child Loop BB57_9 Depth 2
                                        ;       Child Loop BB57_12 Depth 3
                                        ;       Child Loop BB57_20 Depth 3
	;; [unrolled: 1-line block ×3, first 2 shown]
	v_or_b32_e32 v16, s2, v31
	v_cmp_gt_i32_e32 vcc, s33, v16
	s_and_saveexec_b64 s[42:43], vcc
	s_cbranch_execz .LBB57_4
; %bb.6:                                ;   in Loop: Header=BB57_5 Depth=1
	v_ashrrev_i32_e32 v17, 31, v16
	v_lshlrev_b64 v[2:3], 2, v[16:17]
	v_lshl_add_u64 v[4:5], s[26:27], 0, v[2:3]
	global_load_dword v6, v[4:5], off
	v_lshl_add_u64 v[4:5], s[24:25], 0, v[2:3]
	global_load_dword v4, v[4:5], off
	s_waitcnt vmcnt(1)
	v_subrev_u32_e32 v17, s58, v6
	s_waitcnt vmcnt(0)
	v_add_u32_e32 v18, v32, v4
	v_cmp_lt_i32_e32 vcc, v18, v17
	s_and_saveexec_b64 s[44:45], vcc
	s_cbranch_execz .LBB57_3
; %bb.7:                                ;   in Loop: Header=BB57_5 Depth=1
	v_lshl_add_u64 v[4:5], s[18:19], 0, v[2:3]
	v_lshl_add_u64 v[2:3], s[16:17], 0, v[2:3]
	global_load_dword v4, v[4:5], off
	s_mov_b64 s[46:47], 0
	global_load_dword v2, v[2:3], off
	s_waitcnt vmcnt(1)
	v_subrev_u32_e32 v36, s58, v4
	s_waitcnt vmcnt(0)
	v_subrev_u32_e32 v37, s58, v2
	v_cmp_lt_i32_e64 s[2:3], v2, v4
	s_branch .LBB57_9
.LBB57_8:                               ;   in Loop: Header=BB57_9 Depth=2
	s_or_b64 exec, exec, s[4:5]
	v_cmp_nlg_f64_e64 s[4:5], |v[6:7]|, s[38:39]
	v_cmp_gt_f64_e32 vcc, v[14:15], v[6:7]
	v_add_u32_e32 v18, 2, v18
	s_or_b64 vcc, s[4:5], vcc
	v_cmp_ge_i32_e64 s[4:5], v18, v17
	v_cndmask_b32_e32 v15, v7, v15, vcc
	s_or_b64 s[46:47], s[4:5], s[46:47]
	v_cndmask_b32_e32 v14, v6, v14, vcc
	s_andn2_b64 exec, exec, s[46:47]
	s_cbranch_execz .LBB57_2
.LBB57_9:                               ;   Parent Loop BB57_5 Depth=1
                                        ; =>  This Loop Header: Depth=2
                                        ;       Child Loop BB57_12 Depth 3
                                        ;       Child Loop BB57_20 Depth 3
                                        ;       Child Loop BB57_28 Depth 3
	v_ashrrev_i32_e32 v19, 31, v18
	v_lshl_add_u64 v[2:3], v[18:19], 2, s[28:29]
	global_load_dword v38, v[2:3], off
	v_mov_b64_e32 v[26:27], 0
	v_mov_b32_e32 v22, v37
	v_mov_b64_e32 v[28:29], 0
	s_waitcnt vmcnt(0)
	v_subrev_u32_e32 v20, s58, v38
	v_ashrrev_i32_e32 v21, 31, v20
	v_lshlrev_b64 v[2:3], 2, v[20:21]
	v_lshl_add_u64 v[4:5], s[18:19], 0, v[2:3]
	global_load_dword v6, v[4:5], off
	v_lshl_add_u64 v[4:5], s[8:9], 0, v[2:3]
	v_lshl_add_u64 v[2:3], s[22:23], 0, v[2:3]
	global_load_dword v4, v[4:5], off
	s_waitcnt vmcnt(0)
	v_subrev_u32_e32 v21, s58, v4
	global_load_dword v5, v[2:3], off
	v_lshl_add_u64 v[2:3], v[18:19], 4, s[30:31]
	global_load_dwordx4 v[10:13], v[2:3], off
	v_subrev_u32_e32 v2, s58, v6
	v_ashrrev_i32_e32 v3, 31, v2
	v_lshl_add_u64 v[2:3], v[2:3], 4, s[14:15]
	global_load_dwordx4 v[6:9], v[2:3], off
	s_waitcnt vmcnt(2)
	v_cmp_lt_i32_e32 vcc, v5, v4
	v_subrev_u32_e32 v24, s58, v5
	s_and_b64 s[4:5], s[2:3], vcc
	s_and_saveexec_b64 s[48:49], s[4:5]
	s_cbranch_execz .LBB57_15
; %bb.10:                               ;   in Loop: Header=BB57_9 Depth=2
	v_mov_b64_e32 v[26:27], 0
	s_mov_b64 s[50:51], 0
	v_mov_b32_e32 v22, v37
	v_mov_b64_e32 v[28:29], 0
	s_branch .LBB57_12
.LBB57_11:                              ;   in Loop: Header=BB57_12 Depth=3
	s_or_b64 exec, exec, s[4:5]
	v_cmp_le_i32_e32 vcc, v2, v3
	s_nop 1
	v_addc_co_u32_e32 v22, vcc, 0, v22, vcc
	v_cmp_ge_i32_e32 vcc, v2, v3
	s_nop 1
	v_addc_co_u32_e32 v24, vcc, 0, v24, vcc
	v_cmp_ge_i32_e32 vcc, v22, v36
	v_cmp_ge_i32_e64 s[4:5], v24, v21
	s_or_b64 s[4:5], vcc, s[4:5]
	s_and_b64 s[4:5], exec, s[4:5]
	s_or_b64 s[50:51], s[4:5], s[50:51]
	s_andn2_b64 exec, exec, s[50:51]
	s_cbranch_execz .LBB57_14
.LBB57_12:                              ;   Parent Loop BB57_5 Depth=1
                                        ;     Parent Loop BB57_9 Depth=2
                                        ; =>    This Inner Loop Header: Depth=3
	v_ashrrev_i32_e32 v23, 31, v22
	v_ashrrev_i32_e32 v25, 31, v24
	v_lshl_add_u64 v[2:3], v[22:23], 2, s[20:21]
	v_lshl_add_u64 v[4:5], v[24:25], 2, s[10:11]
	global_load_dword v2, v[2:3], off
	s_nop 0
	global_load_dword v3, v[4:5], off
	s_waitcnt vmcnt(0)
	v_cmp_eq_u32_e32 vcc, v2, v3
	s_and_saveexec_b64 s[4:5], vcc
	s_cbranch_execz .LBB57_11
; %bb.13:                               ;   in Loop: Header=BB57_12 Depth=3
	v_lshl_add_u64 v[4:5], v[24:25], 2, s[12:13]
	global_load_dword v4, v[4:5], off
	v_lshl_add_u64 v[40:41], v[22:23], 4, s[14:15]
	global_load_dwordx4 v[40:43], v[40:41], off
	s_waitcnt vmcnt(1)
	v_ashrrev_i32_e32 v5, 31, v4
	v_lshl_add_u64 v[4:5], v[4:5], 4, s[14:15]
	global_load_dwordx4 v[44:47], v[4:5], off
	s_waitcnt vmcnt(0)
	v_fmac_f64_e32 v[26:27], v[40:41], v[44:45]
	v_fmac_f64_e32 v[28:29], v[42:43], v[44:45]
	v_fma_f64 v[26:27], -v[42:43], v[46:47], v[26:27]
	v_fmac_f64_e32 v[28:29], v[40:41], v[46:47]
	s_branch .LBB57_11
.LBB57_14:                              ;   in Loop: Header=BB57_9 Depth=2
	s_or_b64 exec, exec, s[50:51]
.LBB57_15:                              ;   in Loop: Header=BB57_9 Depth=2
	s_or_b64 exec, exec, s[48:49]
	s_waitcnt vmcnt(1)
	v_add_f64 v[2:3], v[10:11], -v[26:27]
	v_add_f64 v[4:5], v[12:13], -v[28:29]
	v_cmp_gt_i32_e32 vcc, v16, v20
	s_and_saveexec_b64 s[4:5], vcc
	s_cbranch_execz .LBB57_17
; %bb.16:                               ;   in Loop: Header=BB57_9 Depth=2
	s_waitcnt vmcnt(0)
	v_mul_f64 v[40:41], v[8:9], v[8:9]
	v_fmac_f64_e32 v[40:41], v[6:7], v[6:7]
	v_div_scale_f64 v[42:43], s[48:49], v[40:41], v[40:41], 1.0
	v_rcp_f64_e32 v[44:45], v[42:43]
	v_div_scale_f64 v[46:47], vcc, 1.0, v[40:41], 1.0
	v_fma_f64 v[48:49], -v[42:43], v[44:45], 1.0
	v_fmac_f64_e32 v[44:45], v[44:45], v[48:49]
	v_fma_f64 v[48:49], -v[42:43], v[44:45], 1.0
	v_fmac_f64_e32 v[44:45], v[44:45], v[48:49]
	v_mul_f64 v[48:49], v[46:47], v[44:45]
	v_fma_f64 v[42:43], -v[42:43], v[48:49], v[46:47]
	v_div_fmas_f64 v[42:43], v[42:43], v[44:45], v[48:49]
	v_div_fixup_f64 v[40:41], v[42:43], v[40:41], 1.0
	v_mul_f64 v[42:43], v[8:9], v[4:5]
	v_fmac_f64_e32 v[42:43], v[2:3], v[6:7]
	v_mul_f64 v[2:3], v[8:9], -v[2:3]
	v_mul_f64 v[42:43], v[40:41], v[42:43]
	v_fmac_f64_e32 v[2:3], v[4:5], v[6:7]
	v_mul_f64 v[4:5], v[40:41], v[2:3]
	v_mov_b64_e32 v[2:3], v[42:43]
.LBB57_17:                              ;   in Loop: Header=BB57_9 Depth=2
	s_or_b64 exec, exec, s[4:5]
	v_add_f64 v[10:11], v[26:27], -v[10:11]
	v_add_f64 v[12:13], v[28:29], -v[12:13]
	v_cmp_lt_i32_e32 vcc, v24, v21
	s_and_saveexec_b64 s[4:5], vcc
	s_cbranch_execz .LBB57_25
; %bb.18:                               ;   in Loop: Header=BB57_9 Depth=2
	v_ashrrev_i32_e32 v25, 31, v24
	v_lshl_add_u64 v[26:27], v[24:25], 2, s[10:11]
	s_mov_b64 s[50:51], 0
                                        ; implicit-def: $sgpr48_sgpr49
                                        ; implicit-def: $sgpr54_sgpr55
                                        ; implicit-def: $sgpr52_sgpr53
	s_branch .LBB57_20
.LBB57_19:                              ;   in Loop: Header=BB57_20 Depth=3
	s_or_b64 exec, exec, s[56:57]
	s_and_b64 s[56:57], exec, s[54:55]
	s_or_b64 s[50:51], s[56:57], s[50:51]
	s_andn2_b64 s[48:49], s[48:49], exec
	s_and_b64 s[56:57], s[52:53], exec
	s_or_b64 s[48:49], s[48:49], s[56:57]
	s_andn2_b64 exec, exec, s[50:51]
	s_cbranch_execz .LBB57_22
.LBB57_20:                              ;   Parent Loop BB57_5 Depth=1
                                        ;     Parent Loop BB57_9 Depth=2
                                        ; =>    This Inner Loop Header: Depth=3
	global_load_dword v23, v[26:27], off
	v_mov_b64_e32 v[28:29], v[24:25]
	s_or_b64 s[52:53], s[52:53], exec
	s_or_b64 s[54:55], s[54:55], exec
                                        ; implicit-def: $vgpr24_vgpr25
	s_waitcnt vmcnt(0)
	v_subrev_u32_e32 v23, s58, v23
	v_cmp_ne_u32_e32 vcc, v23, v16
	s_and_saveexec_b64 s[56:57], vcc
	s_cbranch_execz .LBB57_19
; %bb.21:                               ;   in Loop: Header=BB57_20 Depth=3
	v_lshl_add_u64 v[24:25], v[28:29], 0, 1
	v_cmp_ge_i32_e32 vcc, v24, v21
	s_andn2_b64 s[54:55], s[54:55], exec
	s_and_b64 s[60:61], vcc, exec
	v_lshl_add_u64 v[26:27], v[26:27], 0, 4
	s_andn2_b64 s[52:53], s[52:53], exec
	s_or_b64 s[54:55], s[54:55], s[60:61]
	s_branch .LBB57_19
.LBB57_22:                              ;   in Loop: Header=BB57_9 Depth=2
	s_or_b64 exec, exec, s[50:51]
	s_and_saveexec_b64 s[50:51], s[48:49]
	s_xor_b64 s[48:49], exec, s[50:51]
	s_cbranch_execz .LBB57_24
; %bb.23:                               ;   in Loop: Header=BB57_9 Depth=2
	v_lshl_add_u64 v[24:25], v[28:29], 2, s[12:13]
	global_load_dword v24, v[24:25], off
	s_waitcnt vmcnt(0)
	v_ashrrev_i32_e32 v25, 31, v24
	v_lshl_add_u64 v[24:25], v[24:25], 4, s[14:15]
	global_load_dwordx4 v[24:27], v[24:25], off
	s_waitcnt vmcnt(0)
	v_add_f64 v[10:11], v[10:11], v[24:25]
	v_add_f64 v[12:13], v[12:13], v[26:27]
.LBB57_24:                              ;   in Loop: Header=BB57_9 Depth=2
	s_or_b64 exec, exec, s[48:49]
.LBB57_25:                              ;   in Loop: Header=BB57_9 Depth=2
	s_or_b64 exec, exec, s[4:5]
	v_cmp_lt_i32_e32 vcc, v22, v36
	s_and_saveexec_b64 s[4:5], vcc
	s_cbranch_execz .LBB57_33
; %bb.26:                               ;   in Loop: Header=BB57_9 Depth=2
	v_ashrrev_i32_e32 v23, 31, v22
	v_lshl_add_u64 v[24:25], v[22:23], 2, s[20:21]
	s_mov_b64 s[50:51], 0
                                        ; implicit-def: $sgpr48_sgpr49
                                        ; implicit-def: $sgpr54_sgpr55
                                        ; implicit-def: $sgpr52_sgpr53
	s_branch .LBB57_28
.LBB57_27:                              ;   in Loop: Header=BB57_28 Depth=3
	s_or_b64 exec, exec, s[56:57]
	s_and_b64 s[56:57], exec, s[54:55]
	s_or_b64 s[50:51], s[56:57], s[50:51]
	s_andn2_b64 s[48:49], s[48:49], exec
	s_and_b64 s[56:57], s[52:53], exec
	s_or_b64 s[48:49], s[48:49], s[56:57]
	s_andn2_b64 exec, exec, s[50:51]
	s_cbranch_execz .LBB57_30
.LBB57_28:                              ;   Parent Loop BB57_5 Depth=1
                                        ;     Parent Loop BB57_9 Depth=2
                                        ; =>    This Inner Loop Header: Depth=3
	global_load_dword v21, v[24:25], off
	v_mov_b64_e32 v[26:27], v[22:23]
	s_or_b64 s[52:53], s[52:53], exec
	s_or_b64 s[54:55], s[54:55], exec
                                        ; implicit-def: $vgpr22_vgpr23
	s_waitcnt vmcnt(0)
	v_cmp_ne_u32_e32 vcc, v21, v38
	s_and_saveexec_b64 s[56:57], vcc
	s_cbranch_execz .LBB57_27
; %bb.29:                               ;   in Loop: Header=BB57_28 Depth=3
	v_lshl_add_u64 v[22:23], v[26:27], 0, 1
	v_cmp_ge_i32_e32 vcc, v22, v36
	s_andn2_b64 s[54:55], s[54:55], exec
	s_and_b64 s[60:61], vcc, exec
	v_lshl_add_u64 v[24:25], v[24:25], 0, 4
	s_andn2_b64 s[52:53], s[52:53], exec
	s_or_b64 s[54:55], s[54:55], s[60:61]
	s_branch .LBB57_27
.LBB57_30:                              ;   in Loop: Header=BB57_9 Depth=2
	s_or_b64 exec, exec, s[50:51]
	s_and_saveexec_b64 s[50:51], s[48:49]
	s_xor_b64 s[48:49], exec, s[50:51]
	s_cbranch_execz .LBB57_32
; %bb.31:                               ;   in Loop: Header=BB57_9 Depth=2
	v_lshl_add_u64 v[22:23], v[26:27], 4, s[14:15]
	global_load_dwordx4 v[22:25], v[22:23], off
	s_waitcnt vmcnt(0)
	v_fmac_f64_e32 v[10:11], v[22:23], v[6:7]
	v_fmac_f64_e32 v[12:13], v[24:25], v[6:7]
	v_fma_f64 v[10:11], -v[24:25], v[8:9], v[10:11]
	v_fmac_f64_e32 v[12:13], v[22:23], v[8:9]
.LBB57_32:                              ;   in Loop: Header=BB57_9 Depth=2
	s_or_b64 exec, exec, s[48:49]
.LBB57_33:                              ;   in Loop: Header=BB57_9 Depth=2
	s_or_b64 exec, exec, s[4:5]
	s_waitcnt vmcnt(0)
	v_add_f64 v[6:7], v[6:7], v[10:11]
	v_add_f64 v[8:9], v[8:9], v[12:13]
	v_cmp_eq_u32_e32 vcc, v16, v20
	s_nop 1
	v_cndmask_b32_e32 v12, v12, v8, vcc
	v_cndmask_b32_e32 v8, v10, v6, vcc
	;; [unrolled: 1-line block ×4, first 2 shown]
	v_xor_b32_e32 v9, 0x80000000, v6
	v_cmp_lt_f64_e32 vcc, s[34:35], v[8:9]
	v_mov_b32_e32 v10, v12
	s_nop 0
	v_cndmask_b32_e32 v9, v6, v9, vcc
	v_xor_b32_e32 v6, 0x80000000, v13
	v_cmp_gt_f64_e32 vcc, 0, v[12:13]
	s_nop 1
	v_cndmask_b32_e32 v11, v13, v6, vcc
	v_cmp_ngt_f64_e32 vcc, v[8:9], v[10:11]
                                        ; implicit-def: $vgpr6_vgpr7
	s_and_saveexec_b64 s[4:5], vcc
	s_xor_b64 s[4:5], exec, s[4:5]
	s_cbranch_execz .LBB57_37
; %bb.34:                               ;   in Loop: Header=BB57_9 Depth=2
	v_mov_b64_e32 v[6:7], 0
	v_cmp_neq_f64_e32 vcc, 0, v[12:13]
	s_and_saveexec_b64 s[48:49], vcc
	s_cbranch_execz .LBB57_36
; %bb.35:                               ;   in Loop: Header=BB57_9 Depth=2
	v_div_scale_f64 v[6:7], s[50:51], v[10:11], v[10:11], v[8:9]
	v_rcp_f64_e32 v[12:13], v[6:7]
	v_div_scale_f64 v[20:21], vcc, v[8:9], v[10:11], v[8:9]
	v_fma_f64 v[22:23], -v[6:7], v[12:13], 1.0
	v_fmac_f64_e32 v[12:13], v[12:13], v[22:23]
	v_fma_f64 v[22:23], -v[6:7], v[12:13], 1.0
	v_fmac_f64_e32 v[12:13], v[12:13], v[22:23]
	v_mul_f64 v[22:23], v[20:21], v[12:13]
	v_fma_f64 v[6:7], -v[6:7], v[22:23], v[20:21]
	v_div_fmas_f64 v[6:7], v[6:7], v[12:13], v[22:23]
	v_div_fixup_f64 v[6:7], v[6:7], v[10:11], v[8:9]
	v_fma_f64 v[6:7], v[6:7], v[6:7], 1.0
	v_cmp_gt_f64_e32 vcc, s[36:37], v[6:7]
	s_nop 1
	v_cndmask_b32_e32 v8, 0, v34, vcc
	v_ldexp_f64 v[6:7], v[6:7], v8
	v_rsq_f64_e32 v[8:9], v[6:7]
	s_nop 0
	v_mul_f64 v[12:13], v[6:7], v[8:9]
	v_mul_f64 v[8:9], v[8:9], 0.5
	v_fma_f64 v[20:21], -v[8:9], v[12:13], 0.5
	v_fmac_f64_e32 v[12:13], v[12:13], v[20:21]
	v_fma_f64 v[22:23], -v[12:13], v[12:13], v[6:7]
	v_fmac_f64_e32 v[8:9], v[8:9], v[20:21]
	v_fmac_f64_e32 v[12:13], v[22:23], v[8:9]
	v_fma_f64 v[20:21], -v[12:13], v[12:13], v[6:7]
	v_fmac_f64_e32 v[12:13], v[20:21], v[8:9]
	v_cndmask_b32_e32 v8, 0, v35, vcc
	v_ldexp_f64 v[8:9], v[12:13], v8
	v_cmp_class_f64_e32 vcc, v[6:7], v33
	s_nop 1
	v_cndmask_b32_e32 v7, v9, v7, vcc
	v_cndmask_b32_e32 v6, v8, v6, vcc
	v_mul_f64 v[6:7], v[10:11], v[6:7]
.LBB57_36:                              ;   in Loop: Header=BB57_9 Depth=2
	s_or_b64 exec, exec, s[48:49]
                                        ; implicit-def: $vgpr8_vgpr9
                                        ; implicit-def: $vgpr10_vgpr11
.LBB57_37:                              ;   in Loop: Header=BB57_9 Depth=2
	s_andn2_saveexec_b64 s[4:5], s[4:5]
	s_cbranch_execz .LBB57_39
; %bb.38:                               ;   in Loop: Header=BB57_9 Depth=2
	v_div_scale_f64 v[6:7], s[48:49], v[8:9], v[8:9], v[10:11]
	v_rcp_f64_e32 v[12:13], v[6:7]
	v_div_scale_f64 v[20:21], vcc, v[10:11], v[8:9], v[10:11]
	v_fma_f64 v[22:23], -v[6:7], v[12:13], 1.0
	v_fmac_f64_e32 v[12:13], v[12:13], v[22:23]
	v_fma_f64 v[22:23], -v[6:7], v[12:13], 1.0
	v_fmac_f64_e32 v[12:13], v[12:13], v[22:23]
	v_mul_f64 v[22:23], v[20:21], v[12:13]
	v_fma_f64 v[6:7], -v[6:7], v[22:23], v[20:21]
	v_div_fmas_f64 v[6:7], v[6:7], v[12:13], v[22:23]
	v_div_fixup_f64 v[6:7], v[6:7], v[8:9], v[10:11]
	v_fma_f64 v[6:7], v[6:7], v[6:7], 1.0
	v_cmp_gt_f64_e32 vcc, s[36:37], v[6:7]
	s_nop 1
	v_cndmask_b32_e32 v10, 0, v34, vcc
	v_ldexp_f64 v[6:7], v[6:7], v10
	v_rsq_f64_e32 v[10:11], v[6:7]
	s_nop 0
	v_mul_f64 v[12:13], v[6:7], v[10:11]
	v_mul_f64 v[10:11], v[10:11], 0.5
	v_fma_f64 v[20:21], -v[10:11], v[12:13], 0.5
	v_fmac_f64_e32 v[12:13], v[12:13], v[20:21]
	v_fma_f64 v[22:23], -v[12:13], v[12:13], v[6:7]
	v_fmac_f64_e32 v[10:11], v[10:11], v[20:21]
	v_fmac_f64_e32 v[12:13], v[22:23], v[10:11]
	v_fma_f64 v[20:21], -v[12:13], v[12:13], v[6:7]
	v_fmac_f64_e32 v[12:13], v[20:21], v[10:11]
	v_cndmask_b32_e32 v10, 0, v35, vcc
	v_ldexp_f64 v[10:11], v[12:13], v10
	v_cmp_class_f64_e32 vcc, v[6:7], v33
	s_nop 1
	v_cndmask_b32_e32 v7, v11, v7, vcc
	v_cndmask_b32_e32 v6, v10, v6, vcc
	v_mul_f64 v[6:7], v[8:9], v[6:7]
.LBB57_39:                              ;   in Loop: Header=BB57_9 Depth=2
	s_or_b64 exec, exec, s[4:5]
	v_xor_b32_e32 v8, 0x80000000, v3
	v_cmp_gt_f64_e32 vcc, 0, v[2:3]
	v_xor_b32_e32 v10, 0x80000000, v5
                                        ; implicit-def: $vgpr12_vgpr13
	s_nop 0
	v_cndmask_b32_e32 v9, v3, v8, vcc
	v_cmp_gt_f64_e32 vcc, 0, v[4:5]
	v_mov_b32_e32 v8, v2
	s_nop 0
	v_cndmask_b32_e32 v11, v5, v10, vcc
	v_mov_b32_e32 v10, v4
	v_cmp_ngt_f64_e32 vcc, v[8:9], v[10:11]
	s_and_saveexec_b64 s[4:5], vcc
	s_xor_b64 s[4:5], exec, s[4:5]
	s_cbranch_execnz .LBB57_42
; %bb.40:                               ;   in Loop: Header=BB57_9 Depth=2
	s_andn2_saveexec_b64 s[4:5], s[4:5]
	s_cbranch_execnz .LBB57_45
.LBB57_41:                              ;   in Loop: Header=BB57_9 Depth=2
	s_or_b64 exec, exec, s[4:5]
	v_cmp_class_f64_e64 s[48:49], v[12:13], s59
	s_and_saveexec_b64 s[4:5], s[48:49]
	s_cbranch_execz .LBB57_8
	s_branch .LBB57_46
.LBB57_42:                              ;   in Loop: Header=BB57_9 Depth=2
	v_mov_b64_e32 v[12:13], 0
	v_cmp_neq_f64_e32 vcc, 0, v[4:5]
	s_and_saveexec_b64 s[48:49], vcc
	s_cbranch_execz .LBB57_44
; %bb.43:                               ;   in Loop: Header=BB57_9 Depth=2
	v_div_scale_f64 v[12:13], s[50:51], v[10:11], v[10:11], v[8:9]
	v_rcp_f64_e32 v[20:21], v[12:13]
	v_div_scale_f64 v[22:23], vcc, v[8:9], v[10:11], v[8:9]
	v_fma_f64 v[24:25], -v[12:13], v[20:21], 1.0
	v_fmac_f64_e32 v[20:21], v[20:21], v[24:25]
	v_fma_f64 v[24:25], -v[12:13], v[20:21], 1.0
	v_fmac_f64_e32 v[20:21], v[20:21], v[24:25]
	v_mul_f64 v[24:25], v[22:23], v[20:21]
	v_fma_f64 v[12:13], -v[12:13], v[24:25], v[22:23]
	v_div_fmas_f64 v[12:13], v[12:13], v[20:21], v[24:25]
	v_div_fixup_f64 v[8:9], v[12:13], v[10:11], v[8:9]
	v_fma_f64 v[8:9], v[8:9], v[8:9], 1.0
	v_cmp_gt_f64_e32 vcc, s[36:37], v[8:9]
	s_nop 1
	v_cndmask_b32_e32 v12, 0, v34, vcc
	v_ldexp_f64 v[8:9], v[8:9], v12
	v_rsq_f64_e32 v[12:13], v[8:9]
	s_nop 0
	v_mul_f64 v[20:21], v[8:9], v[12:13]
	v_mul_f64 v[12:13], v[12:13], 0.5
	v_fma_f64 v[22:23], -v[12:13], v[20:21], 0.5
	v_fmac_f64_e32 v[20:21], v[20:21], v[22:23]
	v_fma_f64 v[24:25], -v[20:21], v[20:21], v[8:9]
	v_fmac_f64_e32 v[12:13], v[12:13], v[22:23]
	v_fmac_f64_e32 v[20:21], v[24:25], v[12:13]
	v_fma_f64 v[22:23], -v[20:21], v[20:21], v[8:9]
	v_fmac_f64_e32 v[20:21], v[22:23], v[12:13]
	v_cndmask_b32_e32 v12, 0, v35, vcc
	v_ldexp_f64 v[12:13], v[20:21], v12
	v_cmp_class_f64_e32 vcc, v[8:9], v33
	s_nop 1
	v_cndmask_b32_e32 v9, v13, v9, vcc
	v_cndmask_b32_e32 v8, v12, v8, vcc
	v_mul_f64 v[12:13], v[10:11], v[8:9]
.LBB57_44:                              ;   in Loop: Header=BB57_9 Depth=2
	s_or_b64 exec, exec, s[48:49]
                                        ; implicit-def: $vgpr8_vgpr9
                                        ; implicit-def: $vgpr10_vgpr11
	s_andn2_saveexec_b64 s[4:5], s[4:5]
	s_cbranch_execz .LBB57_41
.LBB57_45:                              ;   in Loop: Header=BB57_9 Depth=2
	v_div_scale_f64 v[12:13], s[48:49], v[8:9], v[8:9], v[10:11]
	v_rcp_f64_e32 v[20:21], v[12:13]
	v_div_scale_f64 v[22:23], vcc, v[10:11], v[8:9], v[10:11]
	v_fma_f64 v[24:25], -v[12:13], v[20:21], 1.0
	v_fmac_f64_e32 v[20:21], v[20:21], v[24:25]
	v_fma_f64 v[24:25], -v[12:13], v[20:21], 1.0
	v_fmac_f64_e32 v[20:21], v[20:21], v[24:25]
	v_mul_f64 v[24:25], v[22:23], v[20:21]
	v_fma_f64 v[12:13], -v[12:13], v[24:25], v[22:23]
	v_div_fmas_f64 v[12:13], v[12:13], v[20:21], v[24:25]
	v_div_fixup_f64 v[10:11], v[12:13], v[8:9], v[10:11]
	v_fma_f64 v[10:11], v[10:11], v[10:11], 1.0
	v_cmp_gt_f64_e32 vcc, s[36:37], v[10:11]
	s_nop 1
	v_cndmask_b32_e32 v12, 0, v34, vcc
	v_ldexp_f64 v[10:11], v[10:11], v12
	v_rsq_f64_e32 v[12:13], v[10:11]
	s_nop 0
	v_mul_f64 v[20:21], v[10:11], v[12:13]
	v_mul_f64 v[12:13], v[12:13], 0.5
	v_fma_f64 v[22:23], -v[12:13], v[20:21], 0.5
	v_fmac_f64_e32 v[20:21], v[20:21], v[22:23]
	v_fma_f64 v[24:25], -v[20:21], v[20:21], v[10:11]
	v_fmac_f64_e32 v[12:13], v[12:13], v[22:23]
	v_fmac_f64_e32 v[20:21], v[24:25], v[12:13]
	v_fma_f64 v[22:23], -v[20:21], v[20:21], v[10:11]
	v_fmac_f64_e32 v[20:21], v[22:23], v[12:13]
	v_cndmask_b32_e32 v12, 0, v35, vcc
	v_ldexp_f64 v[12:13], v[20:21], v12
	v_cmp_class_f64_e32 vcc, v[10:11], v33
	s_nop 1
	v_cndmask_b32_e32 v11, v13, v11, vcc
	v_cndmask_b32_e32 v10, v12, v10, vcc
	v_mul_f64 v[12:13], v[8:9], v[10:11]
	s_or_b64 exec, exec, s[4:5]
	v_cmp_class_f64_e64 s[48:49], v[12:13], s59
	s_and_saveexec_b64 s[4:5], s[48:49]
	s_cbranch_execz .LBB57_8
.LBB57_46:                              ;   in Loop: Header=BB57_9 Depth=2
	v_lshl_add_u64 v[8:9], v[18:19], 4, s[14:15]
	global_store_dwordx4 v[8:9], v[2:5], off
	s_branch .LBB57_8
.LBB57_47:
	s_or_b64 exec, exec, s[6:7]
	v_mov_b32_dpp v2, v14 row_shr:1 row_mask:0xf bank_mask:0xf
	v_mov_b32_dpp v4, v15 row_shr:1 row_mask:0xf bank_mask:0xf
	v_cmp_ne_u32_e32 vcc, 0, v30
	s_and_saveexec_b64 s[2:3], vcc
	s_cbranch_execz .LBB57_49
; %bb.48:
	v_mov_b32_e32 v3, v4
	v_cmp_lt_f64_e32 vcc, v[14:15], v[2:3]
	v_lshlrev_b32_e32 v1, 3, v1
	s_nop 0
	v_cndmask_b32_e32 v3, v15, v4, vcc
	v_cndmask_b32_e32 v2, v14, v2, vcc
	ds_write_b64 v1, v[2:3]
.LBB57_49:
	s_or_b64 exec, exec, s[2:3]
	s_movk_i32 s2, 0x100
	v_cmp_gt_u32_e32 vcc, s2, v0
	v_lshlrev_b32_e32 v1, 3, v0
	s_waitcnt lgkmcnt(0)
	s_barrier
	s_and_saveexec_b64 s[2:3], vcc
	s_cbranch_execz .LBB57_51
; %bb.50:
	ds_read2st64_b64 v[2:5], v1 offset1:4
	s_waitcnt lgkmcnt(0)
	v_cmp_lt_f64_e32 vcc, v[2:3], v[4:5]
	s_nop 1
	v_cndmask_b32_e32 v3, v3, v5, vcc
	v_cndmask_b32_e32 v2, v2, v4, vcc
	ds_write_b64 v1, v[2:3]
.LBB57_51:
	s_or_b64 exec, exec, s[2:3]
	s_movk_i32 s2, 0x80
	v_cmp_gt_u32_e32 vcc, s2, v0
	s_waitcnt lgkmcnt(0)
	s_barrier
	s_and_saveexec_b64 s[2:3], vcc
	s_cbranch_execz .LBB57_53
; %bb.52:
	ds_read2st64_b64 v[2:5], v1 offset1:2
	s_waitcnt lgkmcnt(0)
	v_cmp_lt_f64_e32 vcc, v[2:3], v[4:5]
	s_nop 1
	v_cndmask_b32_e32 v3, v3, v5, vcc
	v_cndmask_b32_e32 v2, v2, v4, vcc
	ds_write_b64 v1, v[2:3]
.LBB57_53:
	s_or_b64 exec, exec, s[2:3]
	v_cmp_gt_u32_e32 vcc, 64, v0
	s_waitcnt lgkmcnt(0)
	s_barrier
	s_and_saveexec_b64 s[2:3], vcc
	s_cbranch_execz .LBB57_55
; %bb.54:
	ds_read2st64_b64 v[2:5], v1 offset1:1
	s_waitcnt lgkmcnt(0)
	v_cmp_lt_f64_e32 vcc, v[2:3], v[4:5]
	s_nop 1
	v_cndmask_b32_e32 v3, v3, v5, vcc
	v_cndmask_b32_e32 v2, v2, v4, vcc
	ds_write_b64 v1, v[2:3]
.LBB57_55:
	s_or_b64 exec, exec, s[2:3]
	v_cmp_gt_u32_e32 vcc, 32, v0
	s_waitcnt lgkmcnt(0)
	s_barrier
	s_and_saveexec_b64 s[2:3], vcc
	s_cbranch_execz .LBB57_57
; %bb.56:
	ds_read2_b64 v[2:5], v1 offset1:32
	s_waitcnt lgkmcnt(0)
	v_cmp_lt_f64_e32 vcc, v[2:3], v[4:5]
	s_nop 1
	v_cndmask_b32_e32 v3, v3, v5, vcc
	v_cndmask_b32_e32 v2, v2, v4, vcc
	ds_write_b64 v1, v[2:3]
.LBB57_57:
	s_or_b64 exec, exec, s[2:3]
	v_cmp_gt_u32_e32 vcc, 16, v0
	s_waitcnt lgkmcnt(0)
	s_barrier
	s_and_saveexec_b64 s[2:3], vcc
	s_cbranch_execz .LBB57_59
; %bb.58:
	ds_read2_b64 v[2:5], v1 offset1:16
	s_waitcnt lgkmcnt(0)
	v_cmp_lt_f64_e32 vcc, v[2:3], v[4:5]
	s_nop 1
	v_cndmask_b32_e32 v3, v3, v5, vcc
	v_cndmask_b32_e32 v2, v2, v4, vcc
	ds_write_b64 v1, v[2:3]
.LBB57_59:
	;; [unrolled: 15-line block ×5, first 2 shown]
	s_or_b64 exec, exec, s[2:3]
	v_cmp_eq_u32_e32 vcc, 0, v0
	s_waitcnt lgkmcnt(0)
	s_barrier
	s_and_saveexec_b64 s[4:5], vcc
	s_cbranch_execz .LBB57_67
; %bb.66:
	v_mov_b32_e32 v4, 0
	ds_read_b128 v[0:3], v4
	s_waitcnt lgkmcnt(0)
	v_cmp_lt_f64_e64 s[2:3], v[0:1], v[2:3]
	s_nop 1
	v_cndmask_b32_e64 v1, v1, v3, s[2:3]
	v_cndmask_b32_e64 v0, v0, v2, s[2:3]
	ds_write_b64 v4, v[0:1]
.LBB57_67:
	s_or_b64 exec, exec, s[4:5]
	s_waitcnt lgkmcnt(0)
	s_barrier
	s_and_saveexec_b64 s[2:3], vcc
	s_cbranch_execz .LBB57_70
; %bb.68:
	v_mbcnt_lo_u32_b32 v0, exec_lo, 0
	v_mbcnt_hi_u32_b32 v0, exec_hi, v0
	v_cmp_eq_u32_e32 vcc, 0, v0
	s_and_b64 exec, exec, vcc
	s_cbranch_execz .LBB57_70
; %bb.69:
	s_load_dwordx4 s[0:3], s[0:1], 0x70
	v_mov_b32_e32 v10, 0
	ds_read_b64 v[0:1], v10
	s_waitcnt lgkmcnt(0)
	s_load_dwordx2 s[2:3], s[2:3], 0x0
	s_waitcnt lgkmcnt(0)
	v_div_scale_f64 v[2:3], s[4:5], s[2:3], s[2:3], v[0:1]
	v_rcp_f64_e32 v[4:5], v[2:3]
	v_div_scale_f64 v[6:7], vcc, v[0:1], s[2:3], v[0:1]
	v_fma_f64 v[8:9], -v[2:3], v[4:5], 1.0
	v_fmac_f64_e32 v[4:5], v[4:5], v[8:9]
	v_fma_f64 v[8:9], -v[2:3], v[4:5], 1.0
	v_fmac_f64_e32 v[4:5], v[4:5], v[8:9]
	v_mul_f64 v[8:9], v[6:7], v[4:5]
	v_fma_f64 v[2:3], -v[2:3], v[8:9], v[6:7]
	v_div_fmas_f64 v[2:3], v[2:3], v[4:5], v[8:9]
	v_div_fixup_f64 v[0:1], v[2:3], s[2:3], v[0:1]
	global_atomic_max_f64 v10, v[0:1], s[0:1]
.LBB57_70:
	s_endpgm
	.section	.rodata,"a",@progbits
	.p2align	6, 0x0
	.amdhsa_kernel _ZN9rocsparseL16kernel_calculateILi1024ELi2ELb1E21rocsparse_complex_numIdEiiEEvT4_T3_PKS4_S6_PKS3_PKT2_21rocsparse_index_base_S6_S6_S8_S6_S6_S8_S6_PS9_PNS_15floating_traitsIS9_E6data_tEPKSG_
		.amdhsa_group_segment_fixed_size 4096
		.amdhsa_private_segment_fixed_size 0
		.amdhsa_kernarg_size 128
		.amdhsa_user_sgpr_count 2
		.amdhsa_user_sgpr_dispatch_ptr 0
		.amdhsa_user_sgpr_queue_ptr 0
		.amdhsa_user_sgpr_kernarg_segment_ptr 1
		.amdhsa_user_sgpr_dispatch_id 0
		.amdhsa_user_sgpr_kernarg_preload_length 0
		.amdhsa_user_sgpr_kernarg_preload_offset 0
		.amdhsa_user_sgpr_private_segment_size 0
		.amdhsa_uses_dynamic_stack 0
		.amdhsa_enable_private_segment 0
		.amdhsa_system_sgpr_workgroup_id_x 1
		.amdhsa_system_sgpr_workgroup_id_y 0
		.amdhsa_system_sgpr_workgroup_id_z 0
		.amdhsa_system_sgpr_workgroup_info 0
		.amdhsa_system_vgpr_workitem_id 0
		.amdhsa_next_free_vgpr 50
		.amdhsa_next_free_sgpr 62
		.amdhsa_accum_offset 52
		.amdhsa_reserve_vcc 1
		.amdhsa_float_round_mode_32 0
		.amdhsa_float_round_mode_16_64 0
		.amdhsa_float_denorm_mode_32 3
		.amdhsa_float_denorm_mode_16_64 3
		.amdhsa_dx10_clamp 1
		.amdhsa_ieee_mode 1
		.amdhsa_fp16_overflow 0
		.amdhsa_tg_split 0
		.amdhsa_exception_fp_ieee_invalid_op 0
		.amdhsa_exception_fp_denorm_src 0
		.amdhsa_exception_fp_ieee_div_zero 0
		.amdhsa_exception_fp_ieee_overflow 0
		.amdhsa_exception_fp_ieee_underflow 0
		.amdhsa_exception_fp_ieee_inexact 0
		.amdhsa_exception_int_div_zero 0
	.end_amdhsa_kernel
	.section	.text._ZN9rocsparseL16kernel_calculateILi1024ELi2ELb1E21rocsparse_complex_numIdEiiEEvT4_T3_PKS4_S6_PKS3_PKT2_21rocsparse_index_base_S6_S6_S8_S6_S6_S8_S6_PS9_PNS_15floating_traitsIS9_E6data_tEPKSG_,"axG",@progbits,_ZN9rocsparseL16kernel_calculateILi1024ELi2ELb1E21rocsparse_complex_numIdEiiEEvT4_T3_PKS4_S6_PKS3_PKT2_21rocsparse_index_base_S6_S6_S8_S6_S6_S8_S6_PS9_PNS_15floating_traitsIS9_E6data_tEPKSG_,comdat
.Lfunc_end57:
	.size	_ZN9rocsparseL16kernel_calculateILi1024ELi2ELb1E21rocsparse_complex_numIdEiiEEvT4_T3_PKS4_S6_PKS3_PKT2_21rocsparse_index_base_S6_S6_S8_S6_S6_S8_S6_PS9_PNS_15floating_traitsIS9_E6data_tEPKSG_, .Lfunc_end57-_ZN9rocsparseL16kernel_calculateILi1024ELi2ELb1E21rocsparse_complex_numIdEiiEEvT4_T3_PKS4_S6_PKS3_PKT2_21rocsparse_index_base_S6_S6_S8_S6_S6_S8_S6_PS9_PNS_15floating_traitsIS9_E6data_tEPKSG_
                                        ; -- End function
	.set _ZN9rocsparseL16kernel_calculateILi1024ELi2ELb1E21rocsparse_complex_numIdEiiEEvT4_T3_PKS4_S6_PKS3_PKT2_21rocsparse_index_base_S6_S6_S8_S6_S6_S8_S6_PS9_PNS_15floating_traitsIS9_E6data_tEPKSG_.num_vgpr, 50
	.set _ZN9rocsparseL16kernel_calculateILi1024ELi2ELb1E21rocsparse_complex_numIdEiiEEvT4_T3_PKS4_S6_PKS3_PKT2_21rocsparse_index_base_S6_S6_S8_S6_S6_S8_S6_PS9_PNS_15floating_traitsIS9_E6data_tEPKSG_.num_agpr, 0
	.set _ZN9rocsparseL16kernel_calculateILi1024ELi2ELb1E21rocsparse_complex_numIdEiiEEvT4_T3_PKS4_S6_PKS3_PKT2_21rocsparse_index_base_S6_S6_S8_S6_S6_S8_S6_PS9_PNS_15floating_traitsIS9_E6data_tEPKSG_.numbered_sgpr, 62
	.set _ZN9rocsparseL16kernel_calculateILi1024ELi2ELb1E21rocsparse_complex_numIdEiiEEvT4_T3_PKS4_S6_PKS3_PKT2_21rocsparse_index_base_S6_S6_S8_S6_S6_S8_S6_PS9_PNS_15floating_traitsIS9_E6data_tEPKSG_.num_named_barrier, 0
	.set _ZN9rocsparseL16kernel_calculateILi1024ELi2ELb1E21rocsparse_complex_numIdEiiEEvT4_T3_PKS4_S6_PKS3_PKT2_21rocsparse_index_base_S6_S6_S8_S6_S6_S8_S6_PS9_PNS_15floating_traitsIS9_E6data_tEPKSG_.private_seg_size, 0
	.set _ZN9rocsparseL16kernel_calculateILi1024ELi2ELb1E21rocsparse_complex_numIdEiiEEvT4_T3_PKS4_S6_PKS3_PKT2_21rocsparse_index_base_S6_S6_S8_S6_S6_S8_S6_PS9_PNS_15floating_traitsIS9_E6data_tEPKSG_.uses_vcc, 1
	.set _ZN9rocsparseL16kernel_calculateILi1024ELi2ELb1E21rocsparse_complex_numIdEiiEEvT4_T3_PKS4_S6_PKS3_PKT2_21rocsparse_index_base_S6_S6_S8_S6_S6_S8_S6_PS9_PNS_15floating_traitsIS9_E6data_tEPKSG_.uses_flat_scratch, 0
	.set _ZN9rocsparseL16kernel_calculateILi1024ELi2ELb1E21rocsparse_complex_numIdEiiEEvT4_T3_PKS4_S6_PKS3_PKT2_21rocsparse_index_base_S6_S6_S8_S6_S6_S8_S6_PS9_PNS_15floating_traitsIS9_E6data_tEPKSG_.has_dyn_sized_stack, 0
	.set _ZN9rocsparseL16kernel_calculateILi1024ELi2ELb1E21rocsparse_complex_numIdEiiEEvT4_T3_PKS4_S6_PKS3_PKT2_21rocsparse_index_base_S6_S6_S8_S6_S6_S8_S6_PS9_PNS_15floating_traitsIS9_E6data_tEPKSG_.has_recursion, 0
	.set _ZN9rocsparseL16kernel_calculateILi1024ELi2ELb1E21rocsparse_complex_numIdEiiEEvT4_T3_PKS4_S6_PKS3_PKT2_21rocsparse_index_base_S6_S6_S8_S6_S6_S8_S6_PS9_PNS_15floating_traitsIS9_E6data_tEPKSG_.has_indirect_call, 0
	.section	.AMDGPU.csdata,"",@progbits
; Kernel info:
; codeLenInByte = 3336
; TotalNumSgprs: 68
; NumVgprs: 50
; NumAgprs: 0
; TotalNumVgprs: 50
; ScratchSize: 0
; MemoryBound: 1
; FloatMode: 240
; IeeeMode: 1
; LDSByteSize: 4096 bytes/workgroup (compile time only)
; SGPRBlocks: 8
; VGPRBlocks: 6
; NumSGPRsForWavesPerEU: 68
; NumVGPRsForWavesPerEU: 50
; AccumOffset: 52
; Occupancy: 8
; WaveLimiterHint : 1
; COMPUTE_PGM_RSRC2:SCRATCH_EN: 0
; COMPUTE_PGM_RSRC2:USER_SGPR: 2
; COMPUTE_PGM_RSRC2:TRAP_HANDLER: 0
; COMPUTE_PGM_RSRC2:TGID_X_EN: 1
; COMPUTE_PGM_RSRC2:TGID_Y_EN: 0
; COMPUTE_PGM_RSRC2:TGID_Z_EN: 0
; COMPUTE_PGM_RSRC2:TIDIG_COMP_CNT: 0
; COMPUTE_PGM_RSRC3_GFX90A:ACCUM_OFFSET: 12
; COMPUTE_PGM_RSRC3_GFX90A:TG_SPLIT: 0
	.section	.text._ZN9rocsparseL16kernel_calculateILi1024ELi4ELb1E21rocsparse_complex_numIdEiiEEvT4_T3_PKS4_S6_PKS3_PKT2_21rocsparse_index_base_S6_S6_S8_S6_S6_S8_S6_PS9_PNS_15floating_traitsIS9_E6data_tEPKSG_,"axG",@progbits,_ZN9rocsparseL16kernel_calculateILi1024ELi4ELb1E21rocsparse_complex_numIdEiiEEvT4_T3_PKS4_S6_PKS3_PKT2_21rocsparse_index_base_S6_S6_S8_S6_S6_S8_S6_PS9_PNS_15floating_traitsIS9_E6data_tEPKSG_,comdat
	.globl	_ZN9rocsparseL16kernel_calculateILi1024ELi4ELb1E21rocsparse_complex_numIdEiiEEvT4_T3_PKS4_S6_PKS3_PKT2_21rocsparse_index_base_S6_S6_S8_S6_S6_S8_S6_PS9_PNS_15floating_traitsIS9_E6data_tEPKSG_ ; -- Begin function _ZN9rocsparseL16kernel_calculateILi1024ELi4ELb1E21rocsparse_complex_numIdEiiEEvT4_T3_PKS4_S6_PKS3_PKT2_21rocsparse_index_base_S6_S6_S8_S6_S6_S8_S6_PS9_PNS_15floating_traitsIS9_E6data_tEPKSG_
	.p2align	8
	.type	_ZN9rocsparseL16kernel_calculateILi1024ELi4ELb1E21rocsparse_complex_numIdEiiEEvT4_T3_PKS4_S6_PKS3_PKT2_21rocsparse_index_base_S6_S6_S8_S6_S6_S8_S6_PS9_PNS_15floating_traitsIS9_E6data_tEPKSG_,@function
_ZN9rocsparseL16kernel_calculateILi1024ELi4ELb1E21rocsparse_complex_numIdEiiEEvT4_T3_PKS4_S6_PKS3_PKT2_21rocsparse_index_base_S6_S6_S8_S6_S6_S8_S6_PS9_PNS_15floating_traitsIS9_E6data_tEPKSG_: ; @_ZN9rocsparseL16kernel_calculateILi1024ELi4ELb1E21rocsparse_complex_numIdEiiEEvT4_T3_PKS4_S6_PKS3_PKT2_21rocsparse_index_base_S6_S6_S8_S6_S6_S8_S6_PS9_PNS_15floating_traitsIS9_E6data_tEPKSG_
; %bb.0:
	s_load_dword s33, s[0:1], 0x0
	v_lshrrev_b32_e32 v1, 2, v0
	v_lshl_or_b32 v31, s2, 10, v1
	v_and_b32_e32 v30, 3, v0
	v_mov_b64_e32 v[14:15], 0
	s_waitcnt lgkmcnt(0)
	v_cmp_gt_i32_e32 vcc, s33, v31
	s_and_saveexec_b64 s[6:7], vcc
	s_cbranch_execz .LBB58_47
; %bb.1:
	s_load_dword s56, s[0:1], 0x28
	s_load_dwordx8 s[8:15], s[0:1], 0x50
	s_load_dwordx8 s[16:23], s[0:1], 0x30
	;; [unrolled: 1-line block ×3, first 2 shown]
	s_mov_b32 s34, 0
	s_mov_b32 s36, 0
	s_mov_b32 s38, 0
	v_mov_b64_e32 v[14:15], 0
	s_waitcnt lgkmcnt(0)
	v_subrev_u32_e32 v32, s56, v30
	s_mov_b32 s57, 0
	s_brev_b32 s35, 1
	s_brev_b32 s37, 8
	v_mov_b32_e32 v33, 0x260
	s_movk_i32 s58, 0x1f8
	s_mov_b32 s39, 0x7ff00000
	v_mov_b32_e32 v34, 0x100
	v_mov_b32_e32 v35, 0xffffff80
	s_branch .LBB58_5
.LBB58_2:                               ;   in Loop: Header=BB58_5 Depth=1
	s_or_b64 exec, exec, s[44:45]
.LBB58_3:                               ;   in Loop: Header=BB58_5 Depth=1
	s_or_b64 exec, exec, s[42:43]
.LBB58_4:                               ;   in Loop: Header=BB58_5 Depth=1
	s_or_b64 exec, exec, s[40:41]
	s_add_i32 s57, s57, 1
	s_cmp_lg_u32 s57, 4
	s_cbranch_scc0 .LBB58_47
.LBB58_5:                               ; =>This Loop Header: Depth=1
                                        ;     Child Loop BB58_9 Depth 2
                                        ;       Child Loop BB58_12 Depth 3
                                        ;       Child Loop BB58_20 Depth 3
	;; [unrolled: 1-line block ×3, first 2 shown]
	v_lshl_add_u32 v16, s57, 8, v31
	v_cmp_gt_i32_e32 vcc, s33, v16
	s_and_saveexec_b64 s[40:41], vcc
	s_cbranch_execz .LBB58_4
; %bb.6:                                ;   in Loop: Header=BB58_5 Depth=1
	v_ashrrev_i32_e32 v17, 31, v16
	v_lshlrev_b64 v[2:3], 2, v[16:17]
	v_lshl_add_u64 v[4:5], s[26:27], 0, v[2:3]
	global_load_dword v6, v[4:5], off
	v_lshl_add_u64 v[4:5], s[24:25], 0, v[2:3]
	global_load_dword v4, v[4:5], off
	s_waitcnt vmcnt(1)
	v_subrev_u32_e32 v17, s56, v6
	s_waitcnt vmcnt(0)
	v_add_u32_e32 v18, v32, v4
	v_cmp_lt_i32_e32 vcc, v18, v17
	s_and_saveexec_b64 s[42:43], vcc
	s_cbranch_execz .LBB58_3
; %bb.7:                                ;   in Loop: Header=BB58_5 Depth=1
	v_lshl_add_u64 v[4:5], s[18:19], 0, v[2:3]
	v_lshl_add_u64 v[2:3], s[16:17], 0, v[2:3]
	global_load_dword v4, v[4:5], off
	s_mov_b64 s[44:45], 0
	global_load_dword v2, v[2:3], off
	s_waitcnt vmcnt(1)
	v_subrev_u32_e32 v36, s56, v4
	s_waitcnt vmcnt(0)
	v_subrev_u32_e32 v37, s56, v2
	v_cmp_lt_i32_e64 s[2:3], v2, v4
	s_branch .LBB58_9
.LBB58_8:                               ;   in Loop: Header=BB58_9 Depth=2
	s_or_b64 exec, exec, s[4:5]
	v_cmp_nlg_f64_e64 s[4:5], |v[6:7]|, s[38:39]
	v_cmp_gt_f64_e32 vcc, v[14:15], v[6:7]
	v_add_u32_e32 v18, 4, v18
	s_or_b64 vcc, s[4:5], vcc
	v_cmp_ge_i32_e64 s[4:5], v18, v17
	v_cndmask_b32_e32 v15, v7, v15, vcc
	s_or_b64 s[44:45], s[4:5], s[44:45]
	v_cndmask_b32_e32 v14, v6, v14, vcc
	s_andn2_b64 exec, exec, s[44:45]
	s_cbranch_execz .LBB58_2
.LBB58_9:                               ;   Parent Loop BB58_5 Depth=1
                                        ; =>  This Loop Header: Depth=2
                                        ;       Child Loop BB58_12 Depth 3
                                        ;       Child Loop BB58_20 Depth 3
	;; [unrolled: 1-line block ×3, first 2 shown]
	v_ashrrev_i32_e32 v19, 31, v18
	v_lshl_add_u64 v[2:3], v[18:19], 2, s[28:29]
	global_load_dword v38, v[2:3], off
	v_mov_b64_e32 v[26:27], 0
	v_mov_b32_e32 v22, v37
	v_mov_b64_e32 v[28:29], 0
	s_waitcnt vmcnt(0)
	v_subrev_u32_e32 v20, s56, v38
	v_ashrrev_i32_e32 v21, 31, v20
	v_lshlrev_b64 v[2:3], 2, v[20:21]
	v_lshl_add_u64 v[4:5], s[18:19], 0, v[2:3]
	global_load_dword v6, v[4:5], off
	v_lshl_add_u64 v[4:5], s[8:9], 0, v[2:3]
	v_lshl_add_u64 v[2:3], s[22:23], 0, v[2:3]
	global_load_dword v4, v[4:5], off
	s_waitcnt vmcnt(0)
	v_subrev_u32_e32 v21, s56, v4
	global_load_dword v5, v[2:3], off
	v_lshl_add_u64 v[2:3], v[18:19], 4, s[30:31]
	global_load_dwordx4 v[10:13], v[2:3], off
	v_subrev_u32_e32 v2, s56, v6
	v_ashrrev_i32_e32 v3, 31, v2
	v_lshl_add_u64 v[2:3], v[2:3], 4, s[14:15]
	global_load_dwordx4 v[6:9], v[2:3], off
	s_waitcnt vmcnt(2)
	v_cmp_lt_i32_e32 vcc, v5, v4
	v_subrev_u32_e32 v24, s56, v5
	s_and_b64 s[4:5], s[2:3], vcc
	s_and_saveexec_b64 s[46:47], s[4:5]
	s_cbranch_execz .LBB58_15
; %bb.10:                               ;   in Loop: Header=BB58_9 Depth=2
	v_mov_b64_e32 v[26:27], 0
	s_mov_b64 s[48:49], 0
	v_mov_b32_e32 v22, v37
	v_mov_b64_e32 v[28:29], 0
	s_branch .LBB58_12
.LBB58_11:                              ;   in Loop: Header=BB58_12 Depth=3
	s_or_b64 exec, exec, s[4:5]
	v_cmp_le_i32_e32 vcc, v2, v3
	s_nop 1
	v_addc_co_u32_e32 v22, vcc, 0, v22, vcc
	v_cmp_ge_i32_e32 vcc, v2, v3
	s_nop 1
	v_addc_co_u32_e32 v24, vcc, 0, v24, vcc
	v_cmp_ge_i32_e32 vcc, v22, v36
	v_cmp_ge_i32_e64 s[4:5], v24, v21
	s_or_b64 s[4:5], vcc, s[4:5]
	s_and_b64 s[4:5], exec, s[4:5]
	s_or_b64 s[48:49], s[4:5], s[48:49]
	s_andn2_b64 exec, exec, s[48:49]
	s_cbranch_execz .LBB58_14
.LBB58_12:                              ;   Parent Loop BB58_5 Depth=1
                                        ;     Parent Loop BB58_9 Depth=2
                                        ; =>    This Inner Loop Header: Depth=3
	v_ashrrev_i32_e32 v23, 31, v22
	v_ashrrev_i32_e32 v25, 31, v24
	v_lshl_add_u64 v[2:3], v[22:23], 2, s[20:21]
	v_lshl_add_u64 v[4:5], v[24:25], 2, s[10:11]
	global_load_dword v2, v[2:3], off
	s_nop 0
	global_load_dword v3, v[4:5], off
	s_waitcnt vmcnt(0)
	v_cmp_eq_u32_e32 vcc, v2, v3
	s_and_saveexec_b64 s[4:5], vcc
	s_cbranch_execz .LBB58_11
; %bb.13:                               ;   in Loop: Header=BB58_12 Depth=3
	v_lshl_add_u64 v[4:5], v[24:25], 2, s[12:13]
	global_load_dword v4, v[4:5], off
	v_lshl_add_u64 v[40:41], v[22:23], 4, s[14:15]
	global_load_dwordx4 v[40:43], v[40:41], off
	s_waitcnt vmcnt(1)
	v_ashrrev_i32_e32 v5, 31, v4
	v_lshl_add_u64 v[4:5], v[4:5], 4, s[14:15]
	global_load_dwordx4 v[44:47], v[4:5], off
	s_waitcnt vmcnt(0)
	v_fmac_f64_e32 v[26:27], v[40:41], v[44:45]
	v_fmac_f64_e32 v[28:29], v[42:43], v[44:45]
	v_fma_f64 v[26:27], -v[42:43], v[46:47], v[26:27]
	v_fmac_f64_e32 v[28:29], v[40:41], v[46:47]
	s_branch .LBB58_11
.LBB58_14:                              ;   in Loop: Header=BB58_9 Depth=2
	s_or_b64 exec, exec, s[48:49]
.LBB58_15:                              ;   in Loop: Header=BB58_9 Depth=2
	s_or_b64 exec, exec, s[46:47]
	s_waitcnt vmcnt(1)
	v_add_f64 v[2:3], v[10:11], -v[26:27]
	v_add_f64 v[4:5], v[12:13], -v[28:29]
	v_cmp_gt_i32_e32 vcc, v16, v20
	s_and_saveexec_b64 s[4:5], vcc
	s_cbranch_execz .LBB58_17
; %bb.16:                               ;   in Loop: Header=BB58_9 Depth=2
	s_waitcnt vmcnt(0)
	v_mul_f64 v[40:41], v[8:9], v[8:9]
	v_fmac_f64_e32 v[40:41], v[6:7], v[6:7]
	v_div_scale_f64 v[42:43], s[46:47], v[40:41], v[40:41], 1.0
	v_rcp_f64_e32 v[44:45], v[42:43]
	v_div_scale_f64 v[46:47], vcc, 1.0, v[40:41], 1.0
	v_fma_f64 v[48:49], -v[42:43], v[44:45], 1.0
	v_fmac_f64_e32 v[44:45], v[44:45], v[48:49]
	v_fma_f64 v[48:49], -v[42:43], v[44:45], 1.0
	v_fmac_f64_e32 v[44:45], v[44:45], v[48:49]
	v_mul_f64 v[48:49], v[46:47], v[44:45]
	v_fma_f64 v[42:43], -v[42:43], v[48:49], v[46:47]
	v_div_fmas_f64 v[42:43], v[42:43], v[44:45], v[48:49]
	v_div_fixup_f64 v[40:41], v[42:43], v[40:41], 1.0
	v_mul_f64 v[42:43], v[8:9], v[4:5]
	v_fmac_f64_e32 v[42:43], v[2:3], v[6:7]
	v_mul_f64 v[2:3], v[8:9], -v[2:3]
	v_mul_f64 v[42:43], v[40:41], v[42:43]
	v_fmac_f64_e32 v[2:3], v[4:5], v[6:7]
	v_mul_f64 v[4:5], v[40:41], v[2:3]
	v_mov_b64_e32 v[2:3], v[42:43]
.LBB58_17:                              ;   in Loop: Header=BB58_9 Depth=2
	s_or_b64 exec, exec, s[4:5]
	v_add_f64 v[10:11], v[26:27], -v[10:11]
	v_add_f64 v[12:13], v[28:29], -v[12:13]
	v_cmp_lt_i32_e32 vcc, v24, v21
	s_and_saveexec_b64 s[4:5], vcc
	s_cbranch_execz .LBB58_25
; %bb.18:                               ;   in Loop: Header=BB58_9 Depth=2
	v_ashrrev_i32_e32 v25, 31, v24
	v_lshl_add_u64 v[26:27], v[24:25], 2, s[10:11]
	s_mov_b64 s[48:49], 0
                                        ; implicit-def: $sgpr46_sgpr47
                                        ; implicit-def: $sgpr52_sgpr53
                                        ; implicit-def: $sgpr50_sgpr51
	s_branch .LBB58_20
.LBB58_19:                              ;   in Loop: Header=BB58_20 Depth=3
	s_or_b64 exec, exec, s[54:55]
	s_and_b64 s[54:55], exec, s[52:53]
	s_or_b64 s[48:49], s[54:55], s[48:49]
	s_andn2_b64 s[46:47], s[46:47], exec
	s_and_b64 s[54:55], s[50:51], exec
	s_or_b64 s[46:47], s[46:47], s[54:55]
	s_andn2_b64 exec, exec, s[48:49]
	s_cbranch_execz .LBB58_22
.LBB58_20:                              ;   Parent Loop BB58_5 Depth=1
                                        ;     Parent Loop BB58_9 Depth=2
                                        ; =>    This Inner Loop Header: Depth=3
	global_load_dword v23, v[26:27], off
	v_mov_b64_e32 v[28:29], v[24:25]
	s_or_b64 s[50:51], s[50:51], exec
	s_or_b64 s[52:53], s[52:53], exec
                                        ; implicit-def: $vgpr24_vgpr25
	s_waitcnt vmcnt(0)
	v_subrev_u32_e32 v23, s56, v23
	v_cmp_ne_u32_e32 vcc, v23, v16
	s_and_saveexec_b64 s[54:55], vcc
	s_cbranch_execz .LBB58_19
; %bb.21:                               ;   in Loop: Header=BB58_20 Depth=3
	v_lshl_add_u64 v[24:25], v[28:29], 0, 1
	v_cmp_ge_i32_e32 vcc, v24, v21
	s_andn2_b64 s[52:53], s[52:53], exec
	s_and_b64 s[60:61], vcc, exec
	v_lshl_add_u64 v[26:27], v[26:27], 0, 4
	s_andn2_b64 s[50:51], s[50:51], exec
	s_or_b64 s[52:53], s[52:53], s[60:61]
	s_branch .LBB58_19
.LBB58_22:                              ;   in Loop: Header=BB58_9 Depth=2
	s_or_b64 exec, exec, s[48:49]
	s_and_saveexec_b64 s[48:49], s[46:47]
	s_xor_b64 s[46:47], exec, s[48:49]
	s_cbranch_execz .LBB58_24
; %bb.23:                               ;   in Loop: Header=BB58_9 Depth=2
	v_lshl_add_u64 v[24:25], v[28:29], 2, s[12:13]
	global_load_dword v24, v[24:25], off
	s_waitcnt vmcnt(0)
	v_ashrrev_i32_e32 v25, 31, v24
	v_lshl_add_u64 v[24:25], v[24:25], 4, s[14:15]
	global_load_dwordx4 v[24:27], v[24:25], off
	s_waitcnt vmcnt(0)
	v_add_f64 v[10:11], v[10:11], v[24:25]
	v_add_f64 v[12:13], v[12:13], v[26:27]
.LBB58_24:                              ;   in Loop: Header=BB58_9 Depth=2
	s_or_b64 exec, exec, s[46:47]
.LBB58_25:                              ;   in Loop: Header=BB58_9 Depth=2
	s_or_b64 exec, exec, s[4:5]
	v_cmp_lt_i32_e32 vcc, v22, v36
	s_and_saveexec_b64 s[4:5], vcc
	s_cbranch_execz .LBB58_33
; %bb.26:                               ;   in Loop: Header=BB58_9 Depth=2
	v_ashrrev_i32_e32 v23, 31, v22
	v_lshl_add_u64 v[24:25], v[22:23], 2, s[20:21]
	s_mov_b64 s[48:49], 0
                                        ; implicit-def: $sgpr46_sgpr47
                                        ; implicit-def: $sgpr52_sgpr53
                                        ; implicit-def: $sgpr50_sgpr51
	s_branch .LBB58_28
.LBB58_27:                              ;   in Loop: Header=BB58_28 Depth=3
	s_or_b64 exec, exec, s[54:55]
	s_and_b64 s[54:55], exec, s[52:53]
	s_or_b64 s[48:49], s[54:55], s[48:49]
	s_andn2_b64 s[46:47], s[46:47], exec
	s_and_b64 s[54:55], s[50:51], exec
	s_or_b64 s[46:47], s[46:47], s[54:55]
	s_andn2_b64 exec, exec, s[48:49]
	s_cbranch_execz .LBB58_30
.LBB58_28:                              ;   Parent Loop BB58_5 Depth=1
                                        ;     Parent Loop BB58_9 Depth=2
                                        ; =>    This Inner Loop Header: Depth=3
	global_load_dword v21, v[24:25], off
	v_mov_b64_e32 v[26:27], v[22:23]
	s_or_b64 s[50:51], s[50:51], exec
	s_or_b64 s[52:53], s[52:53], exec
                                        ; implicit-def: $vgpr22_vgpr23
	s_waitcnt vmcnt(0)
	v_cmp_ne_u32_e32 vcc, v21, v38
	s_and_saveexec_b64 s[54:55], vcc
	s_cbranch_execz .LBB58_27
; %bb.29:                               ;   in Loop: Header=BB58_28 Depth=3
	v_lshl_add_u64 v[22:23], v[26:27], 0, 1
	v_cmp_ge_i32_e32 vcc, v22, v36
	s_andn2_b64 s[52:53], s[52:53], exec
	s_and_b64 s[60:61], vcc, exec
	v_lshl_add_u64 v[24:25], v[24:25], 0, 4
	s_andn2_b64 s[50:51], s[50:51], exec
	s_or_b64 s[52:53], s[52:53], s[60:61]
	s_branch .LBB58_27
.LBB58_30:                              ;   in Loop: Header=BB58_9 Depth=2
	s_or_b64 exec, exec, s[48:49]
	s_and_saveexec_b64 s[48:49], s[46:47]
	s_xor_b64 s[46:47], exec, s[48:49]
	s_cbranch_execz .LBB58_32
; %bb.31:                               ;   in Loop: Header=BB58_9 Depth=2
	v_lshl_add_u64 v[22:23], v[26:27], 4, s[14:15]
	global_load_dwordx4 v[22:25], v[22:23], off
	s_waitcnt vmcnt(0)
	v_fmac_f64_e32 v[10:11], v[22:23], v[6:7]
	v_fmac_f64_e32 v[12:13], v[24:25], v[6:7]
	v_fma_f64 v[10:11], -v[24:25], v[8:9], v[10:11]
	v_fmac_f64_e32 v[12:13], v[22:23], v[8:9]
.LBB58_32:                              ;   in Loop: Header=BB58_9 Depth=2
	s_or_b64 exec, exec, s[46:47]
.LBB58_33:                              ;   in Loop: Header=BB58_9 Depth=2
	s_or_b64 exec, exec, s[4:5]
	s_waitcnt vmcnt(0)
	v_add_f64 v[6:7], v[6:7], v[10:11]
	v_add_f64 v[8:9], v[8:9], v[12:13]
	v_cmp_eq_u32_e32 vcc, v16, v20
	s_nop 1
	v_cndmask_b32_e32 v12, v12, v8, vcc
	v_cndmask_b32_e32 v8, v10, v6, vcc
	;; [unrolled: 1-line block ×4, first 2 shown]
	v_xor_b32_e32 v9, 0x80000000, v6
	v_cmp_lt_f64_e32 vcc, s[34:35], v[8:9]
	v_mov_b32_e32 v10, v12
	s_nop 0
	v_cndmask_b32_e32 v9, v6, v9, vcc
	v_xor_b32_e32 v6, 0x80000000, v13
	v_cmp_gt_f64_e32 vcc, 0, v[12:13]
	s_nop 1
	v_cndmask_b32_e32 v11, v13, v6, vcc
	v_cmp_ngt_f64_e32 vcc, v[8:9], v[10:11]
                                        ; implicit-def: $vgpr6_vgpr7
	s_and_saveexec_b64 s[4:5], vcc
	s_xor_b64 s[4:5], exec, s[4:5]
	s_cbranch_execz .LBB58_37
; %bb.34:                               ;   in Loop: Header=BB58_9 Depth=2
	v_mov_b64_e32 v[6:7], 0
	v_cmp_neq_f64_e32 vcc, 0, v[12:13]
	s_and_saveexec_b64 s[46:47], vcc
	s_cbranch_execz .LBB58_36
; %bb.35:                               ;   in Loop: Header=BB58_9 Depth=2
	v_div_scale_f64 v[6:7], s[48:49], v[10:11], v[10:11], v[8:9]
	v_rcp_f64_e32 v[12:13], v[6:7]
	v_div_scale_f64 v[20:21], vcc, v[8:9], v[10:11], v[8:9]
	v_fma_f64 v[22:23], -v[6:7], v[12:13], 1.0
	v_fmac_f64_e32 v[12:13], v[12:13], v[22:23]
	v_fma_f64 v[22:23], -v[6:7], v[12:13], 1.0
	v_fmac_f64_e32 v[12:13], v[12:13], v[22:23]
	v_mul_f64 v[22:23], v[20:21], v[12:13]
	v_fma_f64 v[6:7], -v[6:7], v[22:23], v[20:21]
	v_div_fmas_f64 v[6:7], v[6:7], v[12:13], v[22:23]
	v_div_fixup_f64 v[6:7], v[6:7], v[10:11], v[8:9]
	v_fma_f64 v[6:7], v[6:7], v[6:7], 1.0
	v_cmp_gt_f64_e32 vcc, s[36:37], v[6:7]
	s_nop 1
	v_cndmask_b32_e32 v8, 0, v34, vcc
	v_ldexp_f64 v[6:7], v[6:7], v8
	v_rsq_f64_e32 v[8:9], v[6:7]
	s_nop 0
	v_mul_f64 v[12:13], v[6:7], v[8:9]
	v_mul_f64 v[8:9], v[8:9], 0.5
	v_fma_f64 v[20:21], -v[8:9], v[12:13], 0.5
	v_fmac_f64_e32 v[12:13], v[12:13], v[20:21]
	v_fma_f64 v[22:23], -v[12:13], v[12:13], v[6:7]
	v_fmac_f64_e32 v[8:9], v[8:9], v[20:21]
	v_fmac_f64_e32 v[12:13], v[22:23], v[8:9]
	v_fma_f64 v[20:21], -v[12:13], v[12:13], v[6:7]
	v_fmac_f64_e32 v[12:13], v[20:21], v[8:9]
	v_cndmask_b32_e32 v8, 0, v35, vcc
	v_ldexp_f64 v[8:9], v[12:13], v8
	v_cmp_class_f64_e32 vcc, v[6:7], v33
	s_nop 1
	v_cndmask_b32_e32 v7, v9, v7, vcc
	v_cndmask_b32_e32 v6, v8, v6, vcc
	v_mul_f64 v[6:7], v[10:11], v[6:7]
.LBB58_36:                              ;   in Loop: Header=BB58_9 Depth=2
	s_or_b64 exec, exec, s[46:47]
                                        ; implicit-def: $vgpr8_vgpr9
                                        ; implicit-def: $vgpr10_vgpr11
.LBB58_37:                              ;   in Loop: Header=BB58_9 Depth=2
	s_andn2_saveexec_b64 s[4:5], s[4:5]
	s_cbranch_execz .LBB58_39
; %bb.38:                               ;   in Loop: Header=BB58_9 Depth=2
	v_div_scale_f64 v[6:7], s[46:47], v[8:9], v[8:9], v[10:11]
	v_rcp_f64_e32 v[12:13], v[6:7]
	v_div_scale_f64 v[20:21], vcc, v[10:11], v[8:9], v[10:11]
	v_fma_f64 v[22:23], -v[6:7], v[12:13], 1.0
	v_fmac_f64_e32 v[12:13], v[12:13], v[22:23]
	v_fma_f64 v[22:23], -v[6:7], v[12:13], 1.0
	v_fmac_f64_e32 v[12:13], v[12:13], v[22:23]
	v_mul_f64 v[22:23], v[20:21], v[12:13]
	v_fma_f64 v[6:7], -v[6:7], v[22:23], v[20:21]
	v_div_fmas_f64 v[6:7], v[6:7], v[12:13], v[22:23]
	v_div_fixup_f64 v[6:7], v[6:7], v[8:9], v[10:11]
	v_fma_f64 v[6:7], v[6:7], v[6:7], 1.0
	v_cmp_gt_f64_e32 vcc, s[36:37], v[6:7]
	s_nop 1
	v_cndmask_b32_e32 v10, 0, v34, vcc
	v_ldexp_f64 v[6:7], v[6:7], v10
	v_rsq_f64_e32 v[10:11], v[6:7]
	s_nop 0
	v_mul_f64 v[12:13], v[6:7], v[10:11]
	v_mul_f64 v[10:11], v[10:11], 0.5
	v_fma_f64 v[20:21], -v[10:11], v[12:13], 0.5
	v_fmac_f64_e32 v[12:13], v[12:13], v[20:21]
	v_fma_f64 v[22:23], -v[12:13], v[12:13], v[6:7]
	v_fmac_f64_e32 v[10:11], v[10:11], v[20:21]
	v_fmac_f64_e32 v[12:13], v[22:23], v[10:11]
	v_fma_f64 v[20:21], -v[12:13], v[12:13], v[6:7]
	v_fmac_f64_e32 v[12:13], v[20:21], v[10:11]
	v_cndmask_b32_e32 v10, 0, v35, vcc
	v_ldexp_f64 v[10:11], v[12:13], v10
	v_cmp_class_f64_e32 vcc, v[6:7], v33
	s_nop 1
	v_cndmask_b32_e32 v7, v11, v7, vcc
	v_cndmask_b32_e32 v6, v10, v6, vcc
	v_mul_f64 v[6:7], v[8:9], v[6:7]
.LBB58_39:                              ;   in Loop: Header=BB58_9 Depth=2
	s_or_b64 exec, exec, s[4:5]
	v_xor_b32_e32 v8, 0x80000000, v3
	v_cmp_gt_f64_e32 vcc, 0, v[2:3]
	v_xor_b32_e32 v10, 0x80000000, v5
                                        ; implicit-def: $vgpr12_vgpr13
	s_nop 0
	v_cndmask_b32_e32 v9, v3, v8, vcc
	v_cmp_gt_f64_e32 vcc, 0, v[4:5]
	v_mov_b32_e32 v8, v2
	s_nop 0
	v_cndmask_b32_e32 v11, v5, v10, vcc
	v_mov_b32_e32 v10, v4
	v_cmp_ngt_f64_e32 vcc, v[8:9], v[10:11]
	s_and_saveexec_b64 s[4:5], vcc
	s_xor_b64 s[4:5], exec, s[4:5]
	s_cbranch_execnz .LBB58_42
; %bb.40:                               ;   in Loop: Header=BB58_9 Depth=2
	s_andn2_saveexec_b64 s[4:5], s[4:5]
	s_cbranch_execnz .LBB58_45
.LBB58_41:                              ;   in Loop: Header=BB58_9 Depth=2
	s_or_b64 exec, exec, s[4:5]
	v_cmp_class_f64_e64 s[46:47], v[12:13], s58
	s_and_saveexec_b64 s[4:5], s[46:47]
	s_cbranch_execz .LBB58_8
	s_branch .LBB58_46
.LBB58_42:                              ;   in Loop: Header=BB58_9 Depth=2
	v_mov_b64_e32 v[12:13], 0
	v_cmp_neq_f64_e32 vcc, 0, v[4:5]
	s_and_saveexec_b64 s[46:47], vcc
	s_cbranch_execz .LBB58_44
; %bb.43:                               ;   in Loop: Header=BB58_9 Depth=2
	v_div_scale_f64 v[12:13], s[48:49], v[10:11], v[10:11], v[8:9]
	v_rcp_f64_e32 v[20:21], v[12:13]
	v_div_scale_f64 v[22:23], vcc, v[8:9], v[10:11], v[8:9]
	v_fma_f64 v[24:25], -v[12:13], v[20:21], 1.0
	v_fmac_f64_e32 v[20:21], v[20:21], v[24:25]
	v_fma_f64 v[24:25], -v[12:13], v[20:21], 1.0
	v_fmac_f64_e32 v[20:21], v[20:21], v[24:25]
	v_mul_f64 v[24:25], v[22:23], v[20:21]
	v_fma_f64 v[12:13], -v[12:13], v[24:25], v[22:23]
	v_div_fmas_f64 v[12:13], v[12:13], v[20:21], v[24:25]
	v_div_fixup_f64 v[8:9], v[12:13], v[10:11], v[8:9]
	v_fma_f64 v[8:9], v[8:9], v[8:9], 1.0
	v_cmp_gt_f64_e32 vcc, s[36:37], v[8:9]
	s_nop 1
	v_cndmask_b32_e32 v12, 0, v34, vcc
	v_ldexp_f64 v[8:9], v[8:9], v12
	v_rsq_f64_e32 v[12:13], v[8:9]
	s_nop 0
	v_mul_f64 v[20:21], v[8:9], v[12:13]
	v_mul_f64 v[12:13], v[12:13], 0.5
	v_fma_f64 v[22:23], -v[12:13], v[20:21], 0.5
	v_fmac_f64_e32 v[20:21], v[20:21], v[22:23]
	v_fma_f64 v[24:25], -v[20:21], v[20:21], v[8:9]
	v_fmac_f64_e32 v[12:13], v[12:13], v[22:23]
	v_fmac_f64_e32 v[20:21], v[24:25], v[12:13]
	v_fma_f64 v[22:23], -v[20:21], v[20:21], v[8:9]
	v_fmac_f64_e32 v[20:21], v[22:23], v[12:13]
	v_cndmask_b32_e32 v12, 0, v35, vcc
	v_ldexp_f64 v[12:13], v[20:21], v12
	v_cmp_class_f64_e32 vcc, v[8:9], v33
	s_nop 1
	v_cndmask_b32_e32 v9, v13, v9, vcc
	v_cndmask_b32_e32 v8, v12, v8, vcc
	v_mul_f64 v[12:13], v[10:11], v[8:9]
.LBB58_44:                              ;   in Loop: Header=BB58_9 Depth=2
	s_or_b64 exec, exec, s[46:47]
                                        ; implicit-def: $vgpr8_vgpr9
                                        ; implicit-def: $vgpr10_vgpr11
	s_andn2_saveexec_b64 s[4:5], s[4:5]
	s_cbranch_execz .LBB58_41
.LBB58_45:                              ;   in Loop: Header=BB58_9 Depth=2
	v_div_scale_f64 v[12:13], s[46:47], v[8:9], v[8:9], v[10:11]
	v_rcp_f64_e32 v[20:21], v[12:13]
	v_div_scale_f64 v[22:23], vcc, v[10:11], v[8:9], v[10:11]
	v_fma_f64 v[24:25], -v[12:13], v[20:21], 1.0
	v_fmac_f64_e32 v[20:21], v[20:21], v[24:25]
	v_fma_f64 v[24:25], -v[12:13], v[20:21], 1.0
	v_fmac_f64_e32 v[20:21], v[20:21], v[24:25]
	v_mul_f64 v[24:25], v[22:23], v[20:21]
	v_fma_f64 v[12:13], -v[12:13], v[24:25], v[22:23]
	v_div_fmas_f64 v[12:13], v[12:13], v[20:21], v[24:25]
	v_div_fixup_f64 v[10:11], v[12:13], v[8:9], v[10:11]
	v_fma_f64 v[10:11], v[10:11], v[10:11], 1.0
	v_cmp_gt_f64_e32 vcc, s[36:37], v[10:11]
	s_nop 1
	v_cndmask_b32_e32 v12, 0, v34, vcc
	v_ldexp_f64 v[10:11], v[10:11], v12
	v_rsq_f64_e32 v[12:13], v[10:11]
	s_nop 0
	v_mul_f64 v[20:21], v[10:11], v[12:13]
	v_mul_f64 v[12:13], v[12:13], 0.5
	v_fma_f64 v[22:23], -v[12:13], v[20:21], 0.5
	v_fmac_f64_e32 v[20:21], v[20:21], v[22:23]
	v_fma_f64 v[24:25], -v[20:21], v[20:21], v[10:11]
	v_fmac_f64_e32 v[12:13], v[12:13], v[22:23]
	v_fmac_f64_e32 v[20:21], v[24:25], v[12:13]
	v_fma_f64 v[22:23], -v[20:21], v[20:21], v[10:11]
	v_fmac_f64_e32 v[20:21], v[22:23], v[12:13]
	v_cndmask_b32_e32 v12, 0, v35, vcc
	v_ldexp_f64 v[12:13], v[20:21], v12
	v_cmp_class_f64_e32 vcc, v[10:11], v33
	s_nop 1
	v_cndmask_b32_e32 v11, v13, v11, vcc
	v_cndmask_b32_e32 v10, v12, v10, vcc
	v_mul_f64 v[12:13], v[8:9], v[10:11]
	s_or_b64 exec, exec, s[4:5]
	v_cmp_class_f64_e64 s[46:47], v[12:13], s58
	s_and_saveexec_b64 s[4:5], s[46:47]
	s_cbranch_execz .LBB58_8
.LBB58_46:                              ;   in Loop: Header=BB58_9 Depth=2
	v_lshl_add_u64 v[8:9], v[18:19], 4, s[14:15]
	global_store_dwordx4 v[8:9], v[2:5], off
	s_branch .LBB58_8
.LBB58_47:
	s_or_b64 exec, exec, s[6:7]
	v_mov_b32_dpp v2, v14 row_shr:1 row_mask:0xf bank_mask:0xf
	v_mov_b32_dpp v3, v15 row_shr:1 row_mask:0xf bank_mask:0xf
	v_cmp_lt_f64_e32 vcc, v[14:15], v[2:3]
	s_nop 1
	v_cndmask_b32_e32 v3, v15, v3, vcc
	v_cndmask_b32_e32 v2, v14, v2, vcc
	v_cmp_eq_u32_e32 vcc, 3, v30
	v_mov_b32_dpp v6, v3 row_shr:2 row_mask:0xf bank_mask:0xf
	v_mov_b32_dpp v4, v2 row_shr:2 row_mask:0xf bank_mask:0xf
	s_and_saveexec_b64 s[2:3], vcc
	s_cbranch_execz .LBB58_49
; %bb.48:
	v_mov_b32_e32 v5, v6
	v_cmp_lt_f64_e32 vcc, v[2:3], v[4:5]
	v_lshlrev_b32_e32 v1, 3, v1
	s_nop 0
	v_cndmask_b32_e32 v3, v3, v6, vcc
	v_cndmask_b32_e32 v2, v2, v4, vcc
	ds_write_b64 v1, v[2:3]
.LBB58_49:
	s_or_b64 exec, exec, s[2:3]
	s_movk_i32 s2, 0x80
	v_cmp_gt_u32_e32 vcc, s2, v0
	v_lshlrev_b32_e32 v1, 3, v0
	s_waitcnt lgkmcnt(0)
	s_barrier
	s_and_saveexec_b64 s[2:3], vcc
	s_cbranch_execz .LBB58_51
; %bb.50:
	ds_read2st64_b64 v[2:5], v1 offset1:2
	s_waitcnt lgkmcnt(0)
	v_cmp_lt_f64_e32 vcc, v[2:3], v[4:5]
	s_nop 1
	v_cndmask_b32_e32 v3, v3, v5, vcc
	v_cndmask_b32_e32 v2, v2, v4, vcc
	ds_write_b64 v1, v[2:3]
.LBB58_51:
	s_or_b64 exec, exec, s[2:3]
	v_cmp_gt_u32_e32 vcc, 64, v0
	s_waitcnt lgkmcnt(0)
	s_barrier
	s_and_saveexec_b64 s[2:3], vcc
	s_cbranch_execz .LBB58_53
; %bb.52:
	ds_read2st64_b64 v[2:5], v1 offset1:1
	s_waitcnt lgkmcnt(0)
	v_cmp_lt_f64_e32 vcc, v[2:3], v[4:5]
	s_nop 1
	v_cndmask_b32_e32 v3, v3, v5, vcc
	v_cndmask_b32_e32 v2, v2, v4, vcc
	ds_write_b64 v1, v[2:3]
.LBB58_53:
	s_or_b64 exec, exec, s[2:3]
	v_cmp_gt_u32_e32 vcc, 32, v0
	s_waitcnt lgkmcnt(0)
	s_barrier
	s_and_saveexec_b64 s[2:3], vcc
	s_cbranch_execz .LBB58_55
; %bb.54:
	ds_read2_b64 v[2:5], v1 offset1:32
	s_waitcnt lgkmcnt(0)
	v_cmp_lt_f64_e32 vcc, v[2:3], v[4:5]
	s_nop 1
	v_cndmask_b32_e32 v3, v3, v5, vcc
	v_cndmask_b32_e32 v2, v2, v4, vcc
	ds_write_b64 v1, v[2:3]
.LBB58_55:
	s_or_b64 exec, exec, s[2:3]
	v_cmp_gt_u32_e32 vcc, 16, v0
	s_waitcnt lgkmcnt(0)
	s_barrier
	s_and_saveexec_b64 s[2:3], vcc
	s_cbranch_execz .LBB58_57
; %bb.56:
	ds_read2_b64 v[2:5], v1 offset1:16
	s_waitcnt lgkmcnt(0)
	v_cmp_lt_f64_e32 vcc, v[2:3], v[4:5]
	s_nop 1
	v_cndmask_b32_e32 v3, v3, v5, vcc
	v_cndmask_b32_e32 v2, v2, v4, vcc
	ds_write_b64 v1, v[2:3]
.LBB58_57:
	;; [unrolled: 15-line block ×5, first 2 shown]
	s_or_b64 exec, exec, s[2:3]
	v_cmp_eq_u32_e32 vcc, 0, v0
	s_waitcnt lgkmcnt(0)
	s_barrier
	s_and_saveexec_b64 s[4:5], vcc
	s_cbranch_execz .LBB58_65
; %bb.64:
	v_mov_b32_e32 v4, 0
	ds_read_b128 v[0:3], v4
	s_waitcnt lgkmcnt(0)
	v_cmp_lt_f64_e64 s[2:3], v[0:1], v[2:3]
	s_nop 1
	v_cndmask_b32_e64 v1, v1, v3, s[2:3]
	v_cndmask_b32_e64 v0, v0, v2, s[2:3]
	ds_write_b64 v4, v[0:1]
.LBB58_65:
	s_or_b64 exec, exec, s[4:5]
	s_waitcnt lgkmcnt(0)
	s_barrier
	s_and_saveexec_b64 s[2:3], vcc
	s_cbranch_execz .LBB58_68
; %bb.66:
	v_mbcnt_lo_u32_b32 v0, exec_lo, 0
	v_mbcnt_hi_u32_b32 v0, exec_hi, v0
	v_cmp_eq_u32_e32 vcc, 0, v0
	s_and_b64 exec, exec, vcc
	s_cbranch_execz .LBB58_68
; %bb.67:
	s_load_dwordx4 s[0:3], s[0:1], 0x70
	v_mov_b32_e32 v10, 0
	ds_read_b64 v[0:1], v10
	s_waitcnt lgkmcnt(0)
	s_load_dwordx2 s[2:3], s[2:3], 0x0
	s_waitcnt lgkmcnt(0)
	v_div_scale_f64 v[2:3], s[4:5], s[2:3], s[2:3], v[0:1]
	v_rcp_f64_e32 v[4:5], v[2:3]
	v_div_scale_f64 v[6:7], vcc, v[0:1], s[2:3], v[0:1]
	v_fma_f64 v[8:9], -v[2:3], v[4:5], 1.0
	v_fmac_f64_e32 v[4:5], v[4:5], v[8:9]
	v_fma_f64 v[8:9], -v[2:3], v[4:5], 1.0
	v_fmac_f64_e32 v[4:5], v[4:5], v[8:9]
	v_mul_f64 v[8:9], v[6:7], v[4:5]
	v_fma_f64 v[2:3], -v[2:3], v[8:9], v[6:7]
	v_div_fmas_f64 v[2:3], v[2:3], v[4:5], v[8:9]
	v_div_fixup_f64 v[0:1], v[2:3], s[2:3], v[0:1]
	global_atomic_max_f64 v10, v[0:1], s[0:1]
.LBB58_68:
	s_endpgm
	.section	.rodata,"a",@progbits
	.p2align	6, 0x0
	.amdhsa_kernel _ZN9rocsparseL16kernel_calculateILi1024ELi4ELb1E21rocsparse_complex_numIdEiiEEvT4_T3_PKS4_S6_PKS3_PKT2_21rocsparse_index_base_S6_S6_S8_S6_S6_S8_S6_PS9_PNS_15floating_traitsIS9_E6data_tEPKSG_
		.amdhsa_group_segment_fixed_size 2048
		.amdhsa_private_segment_fixed_size 0
		.amdhsa_kernarg_size 128
		.amdhsa_user_sgpr_count 2
		.amdhsa_user_sgpr_dispatch_ptr 0
		.amdhsa_user_sgpr_queue_ptr 0
		.amdhsa_user_sgpr_kernarg_segment_ptr 1
		.amdhsa_user_sgpr_dispatch_id 0
		.amdhsa_user_sgpr_kernarg_preload_length 0
		.amdhsa_user_sgpr_kernarg_preload_offset 0
		.amdhsa_user_sgpr_private_segment_size 0
		.amdhsa_uses_dynamic_stack 0
		.amdhsa_enable_private_segment 0
		.amdhsa_system_sgpr_workgroup_id_x 1
		.amdhsa_system_sgpr_workgroup_id_y 0
		.amdhsa_system_sgpr_workgroup_id_z 0
		.amdhsa_system_sgpr_workgroup_info 0
		.amdhsa_system_vgpr_workitem_id 0
		.amdhsa_next_free_vgpr 50
		.amdhsa_next_free_sgpr 62
		.amdhsa_accum_offset 52
		.amdhsa_reserve_vcc 1
		.amdhsa_float_round_mode_32 0
		.amdhsa_float_round_mode_16_64 0
		.amdhsa_float_denorm_mode_32 3
		.amdhsa_float_denorm_mode_16_64 3
		.amdhsa_dx10_clamp 1
		.amdhsa_ieee_mode 1
		.amdhsa_fp16_overflow 0
		.amdhsa_tg_split 0
		.amdhsa_exception_fp_ieee_invalid_op 0
		.amdhsa_exception_fp_denorm_src 0
		.amdhsa_exception_fp_ieee_div_zero 0
		.amdhsa_exception_fp_ieee_overflow 0
		.amdhsa_exception_fp_ieee_underflow 0
		.amdhsa_exception_fp_ieee_inexact 0
		.amdhsa_exception_int_div_zero 0
	.end_amdhsa_kernel
	.section	.text._ZN9rocsparseL16kernel_calculateILi1024ELi4ELb1E21rocsparse_complex_numIdEiiEEvT4_T3_PKS4_S6_PKS3_PKT2_21rocsparse_index_base_S6_S6_S8_S6_S6_S8_S6_PS9_PNS_15floating_traitsIS9_E6data_tEPKSG_,"axG",@progbits,_ZN9rocsparseL16kernel_calculateILi1024ELi4ELb1E21rocsparse_complex_numIdEiiEEvT4_T3_PKS4_S6_PKS3_PKT2_21rocsparse_index_base_S6_S6_S8_S6_S6_S8_S6_PS9_PNS_15floating_traitsIS9_E6data_tEPKSG_,comdat
.Lfunc_end58:
	.size	_ZN9rocsparseL16kernel_calculateILi1024ELi4ELb1E21rocsparse_complex_numIdEiiEEvT4_T3_PKS4_S6_PKS3_PKT2_21rocsparse_index_base_S6_S6_S8_S6_S6_S8_S6_PS9_PNS_15floating_traitsIS9_E6data_tEPKSG_, .Lfunc_end58-_ZN9rocsparseL16kernel_calculateILi1024ELi4ELb1E21rocsparse_complex_numIdEiiEEvT4_T3_PKS4_S6_PKS3_PKT2_21rocsparse_index_base_S6_S6_S8_S6_S6_S8_S6_PS9_PNS_15floating_traitsIS9_E6data_tEPKSG_
                                        ; -- End function
	.set _ZN9rocsparseL16kernel_calculateILi1024ELi4ELb1E21rocsparse_complex_numIdEiiEEvT4_T3_PKS4_S6_PKS3_PKT2_21rocsparse_index_base_S6_S6_S8_S6_S6_S8_S6_PS9_PNS_15floating_traitsIS9_E6data_tEPKSG_.num_vgpr, 50
	.set _ZN9rocsparseL16kernel_calculateILi1024ELi4ELb1E21rocsparse_complex_numIdEiiEEvT4_T3_PKS4_S6_PKS3_PKT2_21rocsparse_index_base_S6_S6_S8_S6_S6_S8_S6_PS9_PNS_15floating_traitsIS9_E6data_tEPKSG_.num_agpr, 0
	.set _ZN9rocsparseL16kernel_calculateILi1024ELi4ELb1E21rocsparse_complex_numIdEiiEEvT4_T3_PKS4_S6_PKS3_PKT2_21rocsparse_index_base_S6_S6_S8_S6_S6_S8_S6_PS9_PNS_15floating_traitsIS9_E6data_tEPKSG_.numbered_sgpr, 62
	.set _ZN9rocsparseL16kernel_calculateILi1024ELi4ELb1E21rocsparse_complex_numIdEiiEEvT4_T3_PKS4_S6_PKS3_PKT2_21rocsparse_index_base_S6_S6_S8_S6_S6_S8_S6_PS9_PNS_15floating_traitsIS9_E6data_tEPKSG_.num_named_barrier, 0
	.set _ZN9rocsparseL16kernel_calculateILi1024ELi4ELb1E21rocsparse_complex_numIdEiiEEvT4_T3_PKS4_S6_PKS3_PKT2_21rocsparse_index_base_S6_S6_S8_S6_S6_S8_S6_PS9_PNS_15floating_traitsIS9_E6data_tEPKSG_.private_seg_size, 0
	.set _ZN9rocsparseL16kernel_calculateILi1024ELi4ELb1E21rocsparse_complex_numIdEiiEEvT4_T3_PKS4_S6_PKS3_PKT2_21rocsparse_index_base_S6_S6_S8_S6_S6_S8_S6_PS9_PNS_15floating_traitsIS9_E6data_tEPKSG_.uses_vcc, 1
	.set _ZN9rocsparseL16kernel_calculateILi1024ELi4ELb1E21rocsparse_complex_numIdEiiEEvT4_T3_PKS4_S6_PKS3_PKT2_21rocsparse_index_base_S6_S6_S8_S6_S6_S8_S6_PS9_PNS_15floating_traitsIS9_E6data_tEPKSG_.uses_flat_scratch, 0
	.set _ZN9rocsparseL16kernel_calculateILi1024ELi4ELb1E21rocsparse_complex_numIdEiiEEvT4_T3_PKS4_S6_PKS3_PKT2_21rocsparse_index_base_S6_S6_S8_S6_S6_S8_S6_PS9_PNS_15floating_traitsIS9_E6data_tEPKSG_.has_dyn_sized_stack, 0
	.set _ZN9rocsparseL16kernel_calculateILi1024ELi4ELb1E21rocsparse_complex_numIdEiiEEvT4_T3_PKS4_S6_PKS3_PKT2_21rocsparse_index_base_S6_S6_S8_S6_S6_S8_S6_PS9_PNS_15floating_traitsIS9_E6data_tEPKSG_.has_recursion, 0
	.set _ZN9rocsparseL16kernel_calculateILi1024ELi4ELb1E21rocsparse_complex_numIdEiiEEvT4_T3_PKS4_S6_PKS3_PKT2_21rocsparse_index_base_S6_S6_S8_S6_S6_S8_S6_PS9_PNS_15floating_traitsIS9_E6data_tEPKSG_.has_indirect_call, 0
	.section	.AMDGPU.csdata,"",@progbits
; Kernel info:
; codeLenInByte = 3296
; TotalNumSgprs: 68
; NumVgprs: 50
; NumAgprs: 0
; TotalNumVgprs: 50
; ScratchSize: 0
; MemoryBound: 1
; FloatMode: 240
; IeeeMode: 1
; LDSByteSize: 2048 bytes/workgroup (compile time only)
; SGPRBlocks: 8
; VGPRBlocks: 6
; NumSGPRsForWavesPerEU: 68
; NumVGPRsForWavesPerEU: 50
; AccumOffset: 52
; Occupancy: 8
; WaveLimiterHint : 1
; COMPUTE_PGM_RSRC2:SCRATCH_EN: 0
; COMPUTE_PGM_RSRC2:USER_SGPR: 2
; COMPUTE_PGM_RSRC2:TRAP_HANDLER: 0
; COMPUTE_PGM_RSRC2:TGID_X_EN: 1
; COMPUTE_PGM_RSRC2:TGID_Y_EN: 0
; COMPUTE_PGM_RSRC2:TGID_Z_EN: 0
; COMPUTE_PGM_RSRC2:TIDIG_COMP_CNT: 0
; COMPUTE_PGM_RSRC3_GFX90A:ACCUM_OFFSET: 12
; COMPUTE_PGM_RSRC3_GFX90A:TG_SPLIT: 0
	.section	.text._ZN9rocsparseL16kernel_calculateILi1024ELi8ELb1E21rocsparse_complex_numIdEiiEEvT4_T3_PKS4_S6_PKS3_PKT2_21rocsparse_index_base_S6_S6_S8_S6_S6_S8_S6_PS9_PNS_15floating_traitsIS9_E6data_tEPKSG_,"axG",@progbits,_ZN9rocsparseL16kernel_calculateILi1024ELi8ELb1E21rocsparse_complex_numIdEiiEEvT4_T3_PKS4_S6_PKS3_PKT2_21rocsparse_index_base_S6_S6_S8_S6_S6_S8_S6_PS9_PNS_15floating_traitsIS9_E6data_tEPKSG_,comdat
	.globl	_ZN9rocsparseL16kernel_calculateILi1024ELi8ELb1E21rocsparse_complex_numIdEiiEEvT4_T3_PKS4_S6_PKS3_PKT2_21rocsparse_index_base_S6_S6_S8_S6_S6_S8_S6_PS9_PNS_15floating_traitsIS9_E6data_tEPKSG_ ; -- Begin function _ZN9rocsparseL16kernel_calculateILi1024ELi8ELb1E21rocsparse_complex_numIdEiiEEvT4_T3_PKS4_S6_PKS3_PKT2_21rocsparse_index_base_S6_S6_S8_S6_S6_S8_S6_PS9_PNS_15floating_traitsIS9_E6data_tEPKSG_
	.p2align	8
	.type	_ZN9rocsparseL16kernel_calculateILi1024ELi8ELb1E21rocsparse_complex_numIdEiiEEvT4_T3_PKS4_S6_PKS3_PKT2_21rocsparse_index_base_S6_S6_S8_S6_S6_S8_S6_PS9_PNS_15floating_traitsIS9_E6data_tEPKSG_,@function
_ZN9rocsparseL16kernel_calculateILi1024ELi8ELb1E21rocsparse_complex_numIdEiiEEvT4_T3_PKS4_S6_PKS3_PKT2_21rocsparse_index_base_S6_S6_S8_S6_S6_S8_S6_PS9_PNS_15floating_traitsIS9_E6data_tEPKSG_: ; @_ZN9rocsparseL16kernel_calculateILi1024ELi8ELb1E21rocsparse_complex_numIdEiiEEvT4_T3_PKS4_S6_PKS3_PKT2_21rocsparse_index_base_S6_S6_S8_S6_S6_S8_S6_PS9_PNS_15floating_traitsIS9_E6data_tEPKSG_
; %bb.0:
	s_load_dword s33, s[0:1], 0x0
	v_lshrrev_b32_e32 v1, 3, v0
	v_lshl_or_b32 v31, s2, 10, v1
	v_and_b32_e32 v30, 7, v0
	v_mov_b64_e32 v[14:15], 0
	s_waitcnt lgkmcnt(0)
	v_cmp_gt_i32_e32 vcc, s33, v31
	s_and_saveexec_b64 s[6:7], vcc
	s_cbranch_execz .LBB59_47
; %bb.1:
	s_load_dword s56, s[0:1], 0x28
	s_load_dwordx8 s[8:15], s[0:1], 0x50
	s_load_dwordx8 s[16:23], s[0:1], 0x30
	;; [unrolled: 1-line block ×3, first 2 shown]
	s_mov_b32 s34, 0
	s_mov_b32 s36, 0
	;; [unrolled: 1-line block ×3, first 2 shown]
	v_mov_b64_e32 v[14:15], 0
	s_waitcnt lgkmcnt(0)
	v_subrev_u32_e32 v32, s56, v30
	s_mov_b32 s57, 0
	s_brev_b32 s35, 1
	s_brev_b32 s37, 8
	v_mov_b32_e32 v33, 0x260
	s_movk_i32 s58, 0x1f8
	s_mov_b32 s39, 0x7ff00000
	v_mov_b32_e32 v34, 0x100
	v_mov_b32_e32 v35, 0xffffff80
	s_branch .LBB59_5
.LBB59_2:                               ;   in Loop: Header=BB59_5 Depth=1
	s_or_b64 exec, exec, s[44:45]
.LBB59_3:                               ;   in Loop: Header=BB59_5 Depth=1
	s_or_b64 exec, exec, s[42:43]
.LBB59_4:                               ;   in Loop: Header=BB59_5 Depth=1
	s_or_b64 exec, exec, s[40:41]
	s_add_i32 s57, s57, 1
	s_cmp_lg_u32 s57, 8
	s_cbranch_scc0 .LBB59_47
.LBB59_5:                               ; =>This Loop Header: Depth=1
                                        ;     Child Loop BB59_9 Depth 2
                                        ;       Child Loop BB59_12 Depth 3
                                        ;       Child Loop BB59_20 Depth 3
                                        ;       Child Loop BB59_28 Depth 3
	v_lshl_add_u32 v16, s57, 7, v31
	v_cmp_gt_i32_e32 vcc, s33, v16
	s_and_saveexec_b64 s[40:41], vcc
	s_cbranch_execz .LBB59_4
; %bb.6:                                ;   in Loop: Header=BB59_5 Depth=1
	v_ashrrev_i32_e32 v17, 31, v16
	v_lshlrev_b64 v[2:3], 2, v[16:17]
	v_lshl_add_u64 v[4:5], s[26:27], 0, v[2:3]
	global_load_dword v6, v[4:5], off
	v_lshl_add_u64 v[4:5], s[24:25], 0, v[2:3]
	global_load_dword v4, v[4:5], off
	s_waitcnt vmcnt(1)
	v_subrev_u32_e32 v17, s56, v6
	s_waitcnt vmcnt(0)
	v_add_u32_e32 v18, v32, v4
	v_cmp_lt_i32_e32 vcc, v18, v17
	s_and_saveexec_b64 s[42:43], vcc
	s_cbranch_execz .LBB59_3
; %bb.7:                                ;   in Loop: Header=BB59_5 Depth=1
	v_lshl_add_u64 v[4:5], s[18:19], 0, v[2:3]
	v_lshl_add_u64 v[2:3], s[16:17], 0, v[2:3]
	global_load_dword v4, v[4:5], off
	s_mov_b64 s[44:45], 0
	global_load_dword v2, v[2:3], off
	s_waitcnt vmcnt(1)
	v_subrev_u32_e32 v36, s56, v4
	s_waitcnt vmcnt(0)
	v_subrev_u32_e32 v37, s56, v2
	v_cmp_lt_i32_e64 s[2:3], v2, v4
	s_branch .LBB59_9
.LBB59_8:                               ;   in Loop: Header=BB59_9 Depth=2
	s_or_b64 exec, exec, s[4:5]
	v_cmp_nlg_f64_e64 s[4:5], |v[6:7]|, s[38:39]
	v_cmp_gt_f64_e32 vcc, v[14:15], v[6:7]
	v_add_u32_e32 v18, 8, v18
	s_or_b64 vcc, s[4:5], vcc
	v_cmp_ge_i32_e64 s[4:5], v18, v17
	v_cndmask_b32_e32 v15, v7, v15, vcc
	s_or_b64 s[44:45], s[4:5], s[44:45]
	v_cndmask_b32_e32 v14, v6, v14, vcc
	s_andn2_b64 exec, exec, s[44:45]
	s_cbranch_execz .LBB59_2
.LBB59_9:                               ;   Parent Loop BB59_5 Depth=1
                                        ; =>  This Loop Header: Depth=2
                                        ;       Child Loop BB59_12 Depth 3
                                        ;       Child Loop BB59_20 Depth 3
	;; [unrolled: 1-line block ×3, first 2 shown]
	v_ashrrev_i32_e32 v19, 31, v18
	v_lshl_add_u64 v[2:3], v[18:19], 2, s[28:29]
	global_load_dword v38, v[2:3], off
	v_mov_b64_e32 v[26:27], 0
	v_mov_b32_e32 v22, v37
	v_mov_b64_e32 v[28:29], 0
	s_waitcnt vmcnt(0)
	v_subrev_u32_e32 v20, s56, v38
	v_ashrrev_i32_e32 v21, 31, v20
	v_lshlrev_b64 v[2:3], 2, v[20:21]
	v_lshl_add_u64 v[4:5], s[18:19], 0, v[2:3]
	global_load_dword v6, v[4:5], off
	v_lshl_add_u64 v[4:5], s[8:9], 0, v[2:3]
	v_lshl_add_u64 v[2:3], s[22:23], 0, v[2:3]
	global_load_dword v4, v[4:5], off
	s_waitcnt vmcnt(0)
	v_subrev_u32_e32 v21, s56, v4
	global_load_dword v5, v[2:3], off
	v_lshl_add_u64 v[2:3], v[18:19], 4, s[30:31]
	global_load_dwordx4 v[10:13], v[2:3], off
	v_subrev_u32_e32 v2, s56, v6
	v_ashrrev_i32_e32 v3, 31, v2
	v_lshl_add_u64 v[2:3], v[2:3], 4, s[14:15]
	global_load_dwordx4 v[6:9], v[2:3], off
	s_waitcnt vmcnt(2)
	v_cmp_lt_i32_e32 vcc, v5, v4
	v_subrev_u32_e32 v24, s56, v5
	s_and_b64 s[4:5], s[2:3], vcc
	s_and_saveexec_b64 s[46:47], s[4:5]
	s_cbranch_execz .LBB59_15
; %bb.10:                               ;   in Loop: Header=BB59_9 Depth=2
	v_mov_b64_e32 v[26:27], 0
	s_mov_b64 s[48:49], 0
	v_mov_b32_e32 v22, v37
	v_mov_b64_e32 v[28:29], 0
	s_branch .LBB59_12
.LBB59_11:                              ;   in Loop: Header=BB59_12 Depth=3
	s_or_b64 exec, exec, s[4:5]
	v_cmp_le_i32_e32 vcc, v2, v3
	s_nop 1
	v_addc_co_u32_e32 v22, vcc, 0, v22, vcc
	v_cmp_ge_i32_e32 vcc, v2, v3
	s_nop 1
	v_addc_co_u32_e32 v24, vcc, 0, v24, vcc
	v_cmp_ge_i32_e32 vcc, v22, v36
	v_cmp_ge_i32_e64 s[4:5], v24, v21
	s_or_b64 s[4:5], vcc, s[4:5]
	s_and_b64 s[4:5], exec, s[4:5]
	s_or_b64 s[48:49], s[4:5], s[48:49]
	s_andn2_b64 exec, exec, s[48:49]
	s_cbranch_execz .LBB59_14
.LBB59_12:                              ;   Parent Loop BB59_5 Depth=1
                                        ;     Parent Loop BB59_9 Depth=2
                                        ; =>    This Inner Loop Header: Depth=3
	v_ashrrev_i32_e32 v23, 31, v22
	v_ashrrev_i32_e32 v25, 31, v24
	v_lshl_add_u64 v[2:3], v[22:23], 2, s[20:21]
	v_lshl_add_u64 v[4:5], v[24:25], 2, s[10:11]
	global_load_dword v2, v[2:3], off
	s_nop 0
	global_load_dword v3, v[4:5], off
	s_waitcnt vmcnt(0)
	v_cmp_eq_u32_e32 vcc, v2, v3
	s_and_saveexec_b64 s[4:5], vcc
	s_cbranch_execz .LBB59_11
; %bb.13:                               ;   in Loop: Header=BB59_12 Depth=3
	v_lshl_add_u64 v[4:5], v[24:25], 2, s[12:13]
	global_load_dword v4, v[4:5], off
	v_lshl_add_u64 v[40:41], v[22:23], 4, s[14:15]
	global_load_dwordx4 v[40:43], v[40:41], off
	s_waitcnt vmcnt(1)
	v_ashrrev_i32_e32 v5, 31, v4
	v_lshl_add_u64 v[4:5], v[4:5], 4, s[14:15]
	global_load_dwordx4 v[44:47], v[4:5], off
	s_waitcnt vmcnt(0)
	v_fmac_f64_e32 v[26:27], v[40:41], v[44:45]
	v_fmac_f64_e32 v[28:29], v[42:43], v[44:45]
	v_fma_f64 v[26:27], -v[42:43], v[46:47], v[26:27]
	v_fmac_f64_e32 v[28:29], v[40:41], v[46:47]
	s_branch .LBB59_11
.LBB59_14:                              ;   in Loop: Header=BB59_9 Depth=2
	s_or_b64 exec, exec, s[48:49]
.LBB59_15:                              ;   in Loop: Header=BB59_9 Depth=2
	s_or_b64 exec, exec, s[46:47]
	s_waitcnt vmcnt(1)
	v_add_f64 v[2:3], v[10:11], -v[26:27]
	v_add_f64 v[4:5], v[12:13], -v[28:29]
	v_cmp_gt_i32_e32 vcc, v16, v20
	s_and_saveexec_b64 s[4:5], vcc
	s_cbranch_execz .LBB59_17
; %bb.16:                               ;   in Loop: Header=BB59_9 Depth=2
	s_waitcnt vmcnt(0)
	v_mul_f64 v[40:41], v[8:9], v[8:9]
	v_fmac_f64_e32 v[40:41], v[6:7], v[6:7]
	v_div_scale_f64 v[42:43], s[46:47], v[40:41], v[40:41], 1.0
	v_rcp_f64_e32 v[44:45], v[42:43]
	v_div_scale_f64 v[46:47], vcc, 1.0, v[40:41], 1.0
	v_fma_f64 v[48:49], -v[42:43], v[44:45], 1.0
	v_fmac_f64_e32 v[44:45], v[44:45], v[48:49]
	v_fma_f64 v[48:49], -v[42:43], v[44:45], 1.0
	v_fmac_f64_e32 v[44:45], v[44:45], v[48:49]
	v_mul_f64 v[48:49], v[46:47], v[44:45]
	v_fma_f64 v[42:43], -v[42:43], v[48:49], v[46:47]
	v_div_fmas_f64 v[42:43], v[42:43], v[44:45], v[48:49]
	v_div_fixup_f64 v[40:41], v[42:43], v[40:41], 1.0
	v_mul_f64 v[42:43], v[8:9], v[4:5]
	v_fmac_f64_e32 v[42:43], v[2:3], v[6:7]
	v_mul_f64 v[2:3], v[8:9], -v[2:3]
	v_mul_f64 v[42:43], v[40:41], v[42:43]
	v_fmac_f64_e32 v[2:3], v[4:5], v[6:7]
	v_mul_f64 v[4:5], v[40:41], v[2:3]
	v_mov_b64_e32 v[2:3], v[42:43]
.LBB59_17:                              ;   in Loop: Header=BB59_9 Depth=2
	s_or_b64 exec, exec, s[4:5]
	v_add_f64 v[10:11], v[26:27], -v[10:11]
	v_add_f64 v[12:13], v[28:29], -v[12:13]
	v_cmp_lt_i32_e32 vcc, v24, v21
	s_and_saveexec_b64 s[4:5], vcc
	s_cbranch_execz .LBB59_25
; %bb.18:                               ;   in Loop: Header=BB59_9 Depth=2
	v_ashrrev_i32_e32 v25, 31, v24
	v_lshl_add_u64 v[26:27], v[24:25], 2, s[10:11]
	s_mov_b64 s[48:49], 0
                                        ; implicit-def: $sgpr46_sgpr47
                                        ; implicit-def: $sgpr52_sgpr53
                                        ; implicit-def: $sgpr50_sgpr51
	s_branch .LBB59_20
.LBB59_19:                              ;   in Loop: Header=BB59_20 Depth=3
	s_or_b64 exec, exec, s[54:55]
	s_and_b64 s[54:55], exec, s[52:53]
	s_or_b64 s[48:49], s[54:55], s[48:49]
	s_andn2_b64 s[46:47], s[46:47], exec
	s_and_b64 s[54:55], s[50:51], exec
	s_or_b64 s[46:47], s[46:47], s[54:55]
	s_andn2_b64 exec, exec, s[48:49]
	s_cbranch_execz .LBB59_22
.LBB59_20:                              ;   Parent Loop BB59_5 Depth=1
                                        ;     Parent Loop BB59_9 Depth=2
                                        ; =>    This Inner Loop Header: Depth=3
	global_load_dword v23, v[26:27], off
	v_mov_b64_e32 v[28:29], v[24:25]
	s_or_b64 s[50:51], s[50:51], exec
	s_or_b64 s[52:53], s[52:53], exec
                                        ; implicit-def: $vgpr24_vgpr25
	s_waitcnt vmcnt(0)
	v_subrev_u32_e32 v23, s56, v23
	v_cmp_ne_u32_e32 vcc, v23, v16
	s_and_saveexec_b64 s[54:55], vcc
	s_cbranch_execz .LBB59_19
; %bb.21:                               ;   in Loop: Header=BB59_20 Depth=3
	v_lshl_add_u64 v[24:25], v[28:29], 0, 1
	v_cmp_ge_i32_e32 vcc, v24, v21
	s_andn2_b64 s[52:53], s[52:53], exec
	s_and_b64 s[60:61], vcc, exec
	v_lshl_add_u64 v[26:27], v[26:27], 0, 4
	s_andn2_b64 s[50:51], s[50:51], exec
	s_or_b64 s[52:53], s[52:53], s[60:61]
	s_branch .LBB59_19
.LBB59_22:                              ;   in Loop: Header=BB59_9 Depth=2
	s_or_b64 exec, exec, s[48:49]
	s_and_saveexec_b64 s[48:49], s[46:47]
	s_xor_b64 s[46:47], exec, s[48:49]
	s_cbranch_execz .LBB59_24
; %bb.23:                               ;   in Loop: Header=BB59_9 Depth=2
	v_lshl_add_u64 v[24:25], v[28:29], 2, s[12:13]
	global_load_dword v24, v[24:25], off
	s_waitcnt vmcnt(0)
	v_ashrrev_i32_e32 v25, 31, v24
	v_lshl_add_u64 v[24:25], v[24:25], 4, s[14:15]
	global_load_dwordx4 v[24:27], v[24:25], off
	s_waitcnt vmcnt(0)
	v_add_f64 v[10:11], v[10:11], v[24:25]
	v_add_f64 v[12:13], v[12:13], v[26:27]
.LBB59_24:                              ;   in Loop: Header=BB59_9 Depth=2
	s_or_b64 exec, exec, s[46:47]
.LBB59_25:                              ;   in Loop: Header=BB59_9 Depth=2
	s_or_b64 exec, exec, s[4:5]
	v_cmp_lt_i32_e32 vcc, v22, v36
	s_and_saveexec_b64 s[4:5], vcc
	s_cbranch_execz .LBB59_33
; %bb.26:                               ;   in Loop: Header=BB59_9 Depth=2
	v_ashrrev_i32_e32 v23, 31, v22
	v_lshl_add_u64 v[24:25], v[22:23], 2, s[20:21]
	s_mov_b64 s[48:49], 0
                                        ; implicit-def: $sgpr46_sgpr47
                                        ; implicit-def: $sgpr52_sgpr53
                                        ; implicit-def: $sgpr50_sgpr51
	s_branch .LBB59_28
.LBB59_27:                              ;   in Loop: Header=BB59_28 Depth=3
	s_or_b64 exec, exec, s[54:55]
	s_and_b64 s[54:55], exec, s[52:53]
	s_or_b64 s[48:49], s[54:55], s[48:49]
	s_andn2_b64 s[46:47], s[46:47], exec
	s_and_b64 s[54:55], s[50:51], exec
	s_or_b64 s[46:47], s[46:47], s[54:55]
	s_andn2_b64 exec, exec, s[48:49]
	s_cbranch_execz .LBB59_30
.LBB59_28:                              ;   Parent Loop BB59_5 Depth=1
                                        ;     Parent Loop BB59_9 Depth=2
                                        ; =>    This Inner Loop Header: Depth=3
	global_load_dword v21, v[24:25], off
	v_mov_b64_e32 v[26:27], v[22:23]
	s_or_b64 s[50:51], s[50:51], exec
	s_or_b64 s[52:53], s[52:53], exec
                                        ; implicit-def: $vgpr22_vgpr23
	s_waitcnt vmcnt(0)
	v_cmp_ne_u32_e32 vcc, v21, v38
	s_and_saveexec_b64 s[54:55], vcc
	s_cbranch_execz .LBB59_27
; %bb.29:                               ;   in Loop: Header=BB59_28 Depth=3
	v_lshl_add_u64 v[22:23], v[26:27], 0, 1
	v_cmp_ge_i32_e32 vcc, v22, v36
	s_andn2_b64 s[52:53], s[52:53], exec
	s_and_b64 s[60:61], vcc, exec
	v_lshl_add_u64 v[24:25], v[24:25], 0, 4
	s_andn2_b64 s[50:51], s[50:51], exec
	s_or_b64 s[52:53], s[52:53], s[60:61]
	s_branch .LBB59_27
.LBB59_30:                              ;   in Loop: Header=BB59_9 Depth=2
	s_or_b64 exec, exec, s[48:49]
	s_and_saveexec_b64 s[48:49], s[46:47]
	s_xor_b64 s[46:47], exec, s[48:49]
	s_cbranch_execz .LBB59_32
; %bb.31:                               ;   in Loop: Header=BB59_9 Depth=2
	v_lshl_add_u64 v[22:23], v[26:27], 4, s[14:15]
	global_load_dwordx4 v[22:25], v[22:23], off
	s_waitcnt vmcnt(0)
	v_fmac_f64_e32 v[10:11], v[22:23], v[6:7]
	v_fmac_f64_e32 v[12:13], v[24:25], v[6:7]
	v_fma_f64 v[10:11], -v[24:25], v[8:9], v[10:11]
	v_fmac_f64_e32 v[12:13], v[22:23], v[8:9]
.LBB59_32:                              ;   in Loop: Header=BB59_9 Depth=2
	s_or_b64 exec, exec, s[46:47]
.LBB59_33:                              ;   in Loop: Header=BB59_9 Depth=2
	s_or_b64 exec, exec, s[4:5]
	s_waitcnt vmcnt(0)
	v_add_f64 v[6:7], v[6:7], v[10:11]
	v_add_f64 v[8:9], v[8:9], v[12:13]
	v_cmp_eq_u32_e32 vcc, v16, v20
	s_nop 1
	v_cndmask_b32_e32 v12, v12, v8, vcc
	v_cndmask_b32_e32 v8, v10, v6, vcc
	;; [unrolled: 1-line block ×4, first 2 shown]
	v_xor_b32_e32 v9, 0x80000000, v6
	v_cmp_lt_f64_e32 vcc, s[34:35], v[8:9]
	v_mov_b32_e32 v10, v12
	s_nop 0
	v_cndmask_b32_e32 v9, v6, v9, vcc
	v_xor_b32_e32 v6, 0x80000000, v13
	v_cmp_gt_f64_e32 vcc, 0, v[12:13]
	s_nop 1
	v_cndmask_b32_e32 v11, v13, v6, vcc
	v_cmp_ngt_f64_e32 vcc, v[8:9], v[10:11]
                                        ; implicit-def: $vgpr6_vgpr7
	s_and_saveexec_b64 s[4:5], vcc
	s_xor_b64 s[4:5], exec, s[4:5]
	s_cbranch_execz .LBB59_37
; %bb.34:                               ;   in Loop: Header=BB59_9 Depth=2
	v_mov_b64_e32 v[6:7], 0
	v_cmp_neq_f64_e32 vcc, 0, v[12:13]
	s_and_saveexec_b64 s[46:47], vcc
	s_cbranch_execz .LBB59_36
; %bb.35:                               ;   in Loop: Header=BB59_9 Depth=2
	v_div_scale_f64 v[6:7], s[48:49], v[10:11], v[10:11], v[8:9]
	v_rcp_f64_e32 v[12:13], v[6:7]
	v_div_scale_f64 v[20:21], vcc, v[8:9], v[10:11], v[8:9]
	v_fma_f64 v[22:23], -v[6:7], v[12:13], 1.0
	v_fmac_f64_e32 v[12:13], v[12:13], v[22:23]
	v_fma_f64 v[22:23], -v[6:7], v[12:13], 1.0
	v_fmac_f64_e32 v[12:13], v[12:13], v[22:23]
	v_mul_f64 v[22:23], v[20:21], v[12:13]
	v_fma_f64 v[6:7], -v[6:7], v[22:23], v[20:21]
	v_div_fmas_f64 v[6:7], v[6:7], v[12:13], v[22:23]
	v_div_fixup_f64 v[6:7], v[6:7], v[10:11], v[8:9]
	v_fma_f64 v[6:7], v[6:7], v[6:7], 1.0
	v_cmp_gt_f64_e32 vcc, s[36:37], v[6:7]
	s_nop 1
	v_cndmask_b32_e32 v8, 0, v34, vcc
	v_ldexp_f64 v[6:7], v[6:7], v8
	v_rsq_f64_e32 v[8:9], v[6:7]
	s_nop 0
	v_mul_f64 v[12:13], v[6:7], v[8:9]
	v_mul_f64 v[8:9], v[8:9], 0.5
	v_fma_f64 v[20:21], -v[8:9], v[12:13], 0.5
	v_fmac_f64_e32 v[12:13], v[12:13], v[20:21]
	v_fma_f64 v[22:23], -v[12:13], v[12:13], v[6:7]
	v_fmac_f64_e32 v[8:9], v[8:9], v[20:21]
	v_fmac_f64_e32 v[12:13], v[22:23], v[8:9]
	v_fma_f64 v[20:21], -v[12:13], v[12:13], v[6:7]
	v_fmac_f64_e32 v[12:13], v[20:21], v[8:9]
	v_cndmask_b32_e32 v8, 0, v35, vcc
	v_ldexp_f64 v[8:9], v[12:13], v8
	v_cmp_class_f64_e32 vcc, v[6:7], v33
	s_nop 1
	v_cndmask_b32_e32 v7, v9, v7, vcc
	v_cndmask_b32_e32 v6, v8, v6, vcc
	v_mul_f64 v[6:7], v[10:11], v[6:7]
.LBB59_36:                              ;   in Loop: Header=BB59_9 Depth=2
	s_or_b64 exec, exec, s[46:47]
                                        ; implicit-def: $vgpr8_vgpr9
                                        ; implicit-def: $vgpr10_vgpr11
.LBB59_37:                              ;   in Loop: Header=BB59_9 Depth=2
	s_andn2_saveexec_b64 s[4:5], s[4:5]
	s_cbranch_execz .LBB59_39
; %bb.38:                               ;   in Loop: Header=BB59_9 Depth=2
	v_div_scale_f64 v[6:7], s[46:47], v[8:9], v[8:9], v[10:11]
	v_rcp_f64_e32 v[12:13], v[6:7]
	v_div_scale_f64 v[20:21], vcc, v[10:11], v[8:9], v[10:11]
	v_fma_f64 v[22:23], -v[6:7], v[12:13], 1.0
	v_fmac_f64_e32 v[12:13], v[12:13], v[22:23]
	v_fma_f64 v[22:23], -v[6:7], v[12:13], 1.0
	v_fmac_f64_e32 v[12:13], v[12:13], v[22:23]
	v_mul_f64 v[22:23], v[20:21], v[12:13]
	v_fma_f64 v[6:7], -v[6:7], v[22:23], v[20:21]
	v_div_fmas_f64 v[6:7], v[6:7], v[12:13], v[22:23]
	v_div_fixup_f64 v[6:7], v[6:7], v[8:9], v[10:11]
	v_fma_f64 v[6:7], v[6:7], v[6:7], 1.0
	v_cmp_gt_f64_e32 vcc, s[36:37], v[6:7]
	s_nop 1
	v_cndmask_b32_e32 v10, 0, v34, vcc
	v_ldexp_f64 v[6:7], v[6:7], v10
	v_rsq_f64_e32 v[10:11], v[6:7]
	s_nop 0
	v_mul_f64 v[12:13], v[6:7], v[10:11]
	v_mul_f64 v[10:11], v[10:11], 0.5
	v_fma_f64 v[20:21], -v[10:11], v[12:13], 0.5
	v_fmac_f64_e32 v[12:13], v[12:13], v[20:21]
	v_fma_f64 v[22:23], -v[12:13], v[12:13], v[6:7]
	v_fmac_f64_e32 v[10:11], v[10:11], v[20:21]
	v_fmac_f64_e32 v[12:13], v[22:23], v[10:11]
	v_fma_f64 v[20:21], -v[12:13], v[12:13], v[6:7]
	v_fmac_f64_e32 v[12:13], v[20:21], v[10:11]
	v_cndmask_b32_e32 v10, 0, v35, vcc
	v_ldexp_f64 v[10:11], v[12:13], v10
	v_cmp_class_f64_e32 vcc, v[6:7], v33
	s_nop 1
	v_cndmask_b32_e32 v7, v11, v7, vcc
	v_cndmask_b32_e32 v6, v10, v6, vcc
	v_mul_f64 v[6:7], v[8:9], v[6:7]
.LBB59_39:                              ;   in Loop: Header=BB59_9 Depth=2
	s_or_b64 exec, exec, s[4:5]
	v_xor_b32_e32 v8, 0x80000000, v3
	v_cmp_gt_f64_e32 vcc, 0, v[2:3]
	v_xor_b32_e32 v10, 0x80000000, v5
                                        ; implicit-def: $vgpr12_vgpr13
	s_nop 0
	v_cndmask_b32_e32 v9, v3, v8, vcc
	v_cmp_gt_f64_e32 vcc, 0, v[4:5]
	v_mov_b32_e32 v8, v2
	s_nop 0
	v_cndmask_b32_e32 v11, v5, v10, vcc
	v_mov_b32_e32 v10, v4
	v_cmp_ngt_f64_e32 vcc, v[8:9], v[10:11]
	s_and_saveexec_b64 s[4:5], vcc
	s_xor_b64 s[4:5], exec, s[4:5]
	s_cbranch_execnz .LBB59_42
; %bb.40:                               ;   in Loop: Header=BB59_9 Depth=2
	s_andn2_saveexec_b64 s[4:5], s[4:5]
	s_cbranch_execnz .LBB59_45
.LBB59_41:                              ;   in Loop: Header=BB59_9 Depth=2
	s_or_b64 exec, exec, s[4:5]
	v_cmp_class_f64_e64 s[46:47], v[12:13], s58
	s_and_saveexec_b64 s[4:5], s[46:47]
	s_cbranch_execz .LBB59_8
	s_branch .LBB59_46
.LBB59_42:                              ;   in Loop: Header=BB59_9 Depth=2
	v_mov_b64_e32 v[12:13], 0
	v_cmp_neq_f64_e32 vcc, 0, v[4:5]
	s_and_saveexec_b64 s[46:47], vcc
	s_cbranch_execz .LBB59_44
; %bb.43:                               ;   in Loop: Header=BB59_9 Depth=2
	v_div_scale_f64 v[12:13], s[48:49], v[10:11], v[10:11], v[8:9]
	v_rcp_f64_e32 v[20:21], v[12:13]
	v_div_scale_f64 v[22:23], vcc, v[8:9], v[10:11], v[8:9]
	v_fma_f64 v[24:25], -v[12:13], v[20:21], 1.0
	v_fmac_f64_e32 v[20:21], v[20:21], v[24:25]
	v_fma_f64 v[24:25], -v[12:13], v[20:21], 1.0
	v_fmac_f64_e32 v[20:21], v[20:21], v[24:25]
	v_mul_f64 v[24:25], v[22:23], v[20:21]
	v_fma_f64 v[12:13], -v[12:13], v[24:25], v[22:23]
	v_div_fmas_f64 v[12:13], v[12:13], v[20:21], v[24:25]
	v_div_fixup_f64 v[8:9], v[12:13], v[10:11], v[8:9]
	v_fma_f64 v[8:9], v[8:9], v[8:9], 1.0
	v_cmp_gt_f64_e32 vcc, s[36:37], v[8:9]
	s_nop 1
	v_cndmask_b32_e32 v12, 0, v34, vcc
	v_ldexp_f64 v[8:9], v[8:9], v12
	v_rsq_f64_e32 v[12:13], v[8:9]
	s_nop 0
	v_mul_f64 v[20:21], v[8:9], v[12:13]
	v_mul_f64 v[12:13], v[12:13], 0.5
	v_fma_f64 v[22:23], -v[12:13], v[20:21], 0.5
	v_fmac_f64_e32 v[20:21], v[20:21], v[22:23]
	v_fma_f64 v[24:25], -v[20:21], v[20:21], v[8:9]
	v_fmac_f64_e32 v[12:13], v[12:13], v[22:23]
	v_fmac_f64_e32 v[20:21], v[24:25], v[12:13]
	v_fma_f64 v[22:23], -v[20:21], v[20:21], v[8:9]
	v_fmac_f64_e32 v[20:21], v[22:23], v[12:13]
	v_cndmask_b32_e32 v12, 0, v35, vcc
	v_ldexp_f64 v[12:13], v[20:21], v12
	v_cmp_class_f64_e32 vcc, v[8:9], v33
	s_nop 1
	v_cndmask_b32_e32 v9, v13, v9, vcc
	v_cndmask_b32_e32 v8, v12, v8, vcc
	v_mul_f64 v[12:13], v[10:11], v[8:9]
.LBB59_44:                              ;   in Loop: Header=BB59_9 Depth=2
	s_or_b64 exec, exec, s[46:47]
                                        ; implicit-def: $vgpr8_vgpr9
                                        ; implicit-def: $vgpr10_vgpr11
	s_andn2_saveexec_b64 s[4:5], s[4:5]
	s_cbranch_execz .LBB59_41
.LBB59_45:                              ;   in Loop: Header=BB59_9 Depth=2
	v_div_scale_f64 v[12:13], s[46:47], v[8:9], v[8:9], v[10:11]
	v_rcp_f64_e32 v[20:21], v[12:13]
	v_div_scale_f64 v[22:23], vcc, v[10:11], v[8:9], v[10:11]
	v_fma_f64 v[24:25], -v[12:13], v[20:21], 1.0
	v_fmac_f64_e32 v[20:21], v[20:21], v[24:25]
	v_fma_f64 v[24:25], -v[12:13], v[20:21], 1.0
	v_fmac_f64_e32 v[20:21], v[20:21], v[24:25]
	v_mul_f64 v[24:25], v[22:23], v[20:21]
	v_fma_f64 v[12:13], -v[12:13], v[24:25], v[22:23]
	v_div_fmas_f64 v[12:13], v[12:13], v[20:21], v[24:25]
	v_div_fixup_f64 v[10:11], v[12:13], v[8:9], v[10:11]
	v_fma_f64 v[10:11], v[10:11], v[10:11], 1.0
	v_cmp_gt_f64_e32 vcc, s[36:37], v[10:11]
	s_nop 1
	v_cndmask_b32_e32 v12, 0, v34, vcc
	v_ldexp_f64 v[10:11], v[10:11], v12
	v_rsq_f64_e32 v[12:13], v[10:11]
	s_nop 0
	v_mul_f64 v[20:21], v[10:11], v[12:13]
	v_mul_f64 v[12:13], v[12:13], 0.5
	v_fma_f64 v[22:23], -v[12:13], v[20:21], 0.5
	v_fmac_f64_e32 v[20:21], v[20:21], v[22:23]
	v_fma_f64 v[24:25], -v[20:21], v[20:21], v[10:11]
	v_fmac_f64_e32 v[12:13], v[12:13], v[22:23]
	v_fmac_f64_e32 v[20:21], v[24:25], v[12:13]
	v_fma_f64 v[22:23], -v[20:21], v[20:21], v[10:11]
	v_fmac_f64_e32 v[20:21], v[22:23], v[12:13]
	v_cndmask_b32_e32 v12, 0, v35, vcc
	v_ldexp_f64 v[12:13], v[20:21], v12
	v_cmp_class_f64_e32 vcc, v[10:11], v33
	s_nop 1
	v_cndmask_b32_e32 v11, v13, v11, vcc
	v_cndmask_b32_e32 v10, v12, v10, vcc
	v_mul_f64 v[12:13], v[8:9], v[10:11]
	s_or_b64 exec, exec, s[4:5]
	v_cmp_class_f64_e64 s[46:47], v[12:13], s58
	s_and_saveexec_b64 s[4:5], s[46:47]
	s_cbranch_execz .LBB59_8
.LBB59_46:                              ;   in Loop: Header=BB59_9 Depth=2
	v_lshl_add_u64 v[8:9], v[18:19], 4, s[14:15]
	global_store_dwordx4 v[8:9], v[2:5], off
	s_branch .LBB59_8
.LBB59_47:
	s_or_b64 exec, exec, s[6:7]
	v_mov_b32_dpp v2, v14 row_shr:1 row_mask:0xf bank_mask:0xf
	v_mov_b32_dpp v3, v15 row_shr:1 row_mask:0xf bank_mask:0xf
	v_cmp_lt_f64_e32 vcc, v[14:15], v[2:3]
	s_nop 1
	v_cndmask_b32_e32 v3, v15, v3, vcc
	v_cndmask_b32_e32 v2, v14, v2, vcc
	s_nop 0
	v_mov_b32_dpp v5, v3 row_shr:2 row_mask:0xf bank_mask:0xf
	v_mov_b32_dpp v4, v2 row_shr:2 row_mask:0xf bank_mask:0xf
	v_cmp_lt_f64_e32 vcc, v[2:3], v[4:5]
	s_nop 1
	v_cndmask_b32_e32 v3, v3, v5, vcc
	v_cndmask_b32_e32 v2, v2, v4, vcc
	v_cmp_eq_u32_e32 vcc, 7, v30
	v_mov_b32_dpp v6, v3 row_shr:4 row_mask:0xf bank_mask:0xe
	v_mov_b32_dpp v4, v2 row_shr:4 row_mask:0xf bank_mask:0xe
	s_and_saveexec_b64 s[2:3], vcc
	s_cbranch_execz .LBB59_49
; %bb.48:
	v_mov_b32_e32 v5, v6
	v_cmp_lt_f64_e32 vcc, v[2:3], v[4:5]
	v_lshlrev_b32_e32 v1, 3, v1
	s_nop 0
	v_cndmask_b32_e32 v3, v3, v6, vcc
	v_cndmask_b32_e32 v2, v2, v4, vcc
	ds_write_b64 v1, v[2:3]
.LBB59_49:
	s_or_b64 exec, exec, s[2:3]
	v_cmp_gt_u32_e32 vcc, 64, v0
	v_lshlrev_b32_e32 v1, 3, v0
	s_waitcnt lgkmcnt(0)
	s_barrier
	s_and_saveexec_b64 s[2:3], vcc
	s_cbranch_execz .LBB59_51
; %bb.50:
	ds_read2st64_b64 v[2:5], v1 offset1:1
	s_waitcnt lgkmcnt(0)
	v_cmp_lt_f64_e32 vcc, v[2:3], v[4:5]
	s_nop 1
	v_cndmask_b32_e32 v3, v3, v5, vcc
	v_cndmask_b32_e32 v2, v2, v4, vcc
	ds_write_b64 v1, v[2:3]
.LBB59_51:
	s_or_b64 exec, exec, s[2:3]
	v_cmp_gt_u32_e32 vcc, 32, v0
	s_waitcnt lgkmcnt(0)
	s_barrier
	s_and_saveexec_b64 s[2:3], vcc
	s_cbranch_execz .LBB59_53
; %bb.52:
	ds_read2_b64 v[2:5], v1 offset1:32
	s_waitcnt lgkmcnt(0)
	v_cmp_lt_f64_e32 vcc, v[2:3], v[4:5]
	s_nop 1
	v_cndmask_b32_e32 v3, v3, v5, vcc
	v_cndmask_b32_e32 v2, v2, v4, vcc
	ds_write_b64 v1, v[2:3]
.LBB59_53:
	s_or_b64 exec, exec, s[2:3]
	v_cmp_gt_u32_e32 vcc, 16, v0
	s_waitcnt lgkmcnt(0)
	s_barrier
	s_and_saveexec_b64 s[2:3], vcc
	s_cbranch_execz .LBB59_55
; %bb.54:
	ds_read2_b64 v[2:5], v1 offset1:16
	s_waitcnt lgkmcnt(0)
	v_cmp_lt_f64_e32 vcc, v[2:3], v[4:5]
	s_nop 1
	v_cndmask_b32_e32 v3, v3, v5, vcc
	v_cndmask_b32_e32 v2, v2, v4, vcc
	ds_write_b64 v1, v[2:3]
.LBB59_55:
	;; [unrolled: 15-line block ×5, first 2 shown]
	s_or_b64 exec, exec, s[2:3]
	v_cmp_eq_u32_e32 vcc, 0, v0
	s_waitcnt lgkmcnt(0)
	s_barrier
	s_and_saveexec_b64 s[4:5], vcc
	s_cbranch_execz .LBB59_63
; %bb.62:
	v_mov_b32_e32 v4, 0
	ds_read_b128 v[0:3], v4
	s_waitcnt lgkmcnt(0)
	v_cmp_lt_f64_e64 s[2:3], v[0:1], v[2:3]
	s_nop 1
	v_cndmask_b32_e64 v1, v1, v3, s[2:3]
	v_cndmask_b32_e64 v0, v0, v2, s[2:3]
	ds_write_b64 v4, v[0:1]
.LBB59_63:
	s_or_b64 exec, exec, s[4:5]
	s_waitcnt lgkmcnt(0)
	s_barrier
	s_and_saveexec_b64 s[2:3], vcc
	s_cbranch_execz .LBB59_66
; %bb.64:
	v_mbcnt_lo_u32_b32 v0, exec_lo, 0
	v_mbcnt_hi_u32_b32 v0, exec_hi, v0
	v_cmp_eq_u32_e32 vcc, 0, v0
	s_and_b64 exec, exec, vcc
	s_cbranch_execz .LBB59_66
; %bb.65:
	s_load_dwordx4 s[0:3], s[0:1], 0x70
	v_mov_b32_e32 v10, 0
	ds_read_b64 v[0:1], v10
	s_waitcnt lgkmcnt(0)
	s_load_dwordx2 s[2:3], s[2:3], 0x0
	s_waitcnt lgkmcnt(0)
	v_div_scale_f64 v[2:3], s[4:5], s[2:3], s[2:3], v[0:1]
	v_rcp_f64_e32 v[4:5], v[2:3]
	v_div_scale_f64 v[6:7], vcc, v[0:1], s[2:3], v[0:1]
	v_fma_f64 v[8:9], -v[2:3], v[4:5], 1.0
	v_fmac_f64_e32 v[4:5], v[4:5], v[8:9]
	v_fma_f64 v[8:9], -v[2:3], v[4:5], 1.0
	v_fmac_f64_e32 v[4:5], v[4:5], v[8:9]
	v_mul_f64 v[8:9], v[6:7], v[4:5]
	v_fma_f64 v[2:3], -v[2:3], v[8:9], v[6:7]
	v_div_fmas_f64 v[2:3], v[2:3], v[4:5], v[8:9]
	v_div_fixup_f64 v[0:1], v[2:3], s[2:3], v[0:1]
	global_atomic_max_f64 v10, v[0:1], s[0:1]
.LBB59_66:
	s_endpgm
	.section	.rodata,"a",@progbits
	.p2align	6, 0x0
	.amdhsa_kernel _ZN9rocsparseL16kernel_calculateILi1024ELi8ELb1E21rocsparse_complex_numIdEiiEEvT4_T3_PKS4_S6_PKS3_PKT2_21rocsparse_index_base_S6_S6_S8_S6_S6_S8_S6_PS9_PNS_15floating_traitsIS9_E6data_tEPKSG_
		.amdhsa_group_segment_fixed_size 1024
		.amdhsa_private_segment_fixed_size 0
		.amdhsa_kernarg_size 128
		.amdhsa_user_sgpr_count 2
		.amdhsa_user_sgpr_dispatch_ptr 0
		.amdhsa_user_sgpr_queue_ptr 0
		.amdhsa_user_sgpr_kernarg_segment_ptr 1
		.amdhsa_user_sgpr_dispatch_id 0
		.amdhsa_user_sgpr_kernarg_preload_length 0
		.amdhsa_user_sgpr_kernarg_preload_offset 0
		.amdhsa_user_sgpr_private_segment_size 0
		.amdhsa_uses_dynamic_stack 0
		.amdhsa_enable_private_segment 0
		.amdhsa_system_sgpr_workgroup_id_x 1
		.amdhsa_system_sgpr_workgroup_id_y 0
		.amdhsa_system_sgpr_workgroup_id_z 0
		.amdhsa_system_sgpr_workgroup_info 0
		.amdhsa_system_vgpr_workitem_id 0
		.amdhsa_next_free_vgpr 50
		.amdhsa_next_free_sgpr 62
		.amdhsa_accum_offset 52
		.amdhsa_reserve_vcc 1
		.amdhsa_float_round_mode_32 0
		.amdhsa_float_round_mode_16_64 0
		.amdhsa_float_denorm_mode_32 3
		.amdhsa_float_denorm_mode_16_64 3
		.amdhsa_dx10_clamp 1
		.amdhsa_ieee_mode 1
		.amdhsa_fp16_overflow 0
		.amdhsa_tg_split 0
		.amdhsa_exception_fp_ieee_invalid_op 0
		.amdhsa_exception_fp_denorm_src 0
		.amdhsa_exception_fp_ieee_div_zero 0
		.amdhsa_exception_fp_ieee_overflow 0
		.amdhsa_exception_fp_ieee_underflow 0
		.amdhsa_exception_fp_ieee_inexact 0
		.amdhsa_exception_int_div_zero 0
	.end_amdhsa_kernel
	.section	.text._ZN9rocsparseL16kernel_calculateILi1024ELi8ELb1E21rocsparse_complex_numIdEiiEEvT4_T3_PKS4_S6_PKS3_PKT2_21rocsparse_index_base_S6_S6_S8_S6_S6_S8_S6_PS9_PNS_15floating_traitsIS9_E6data_tEPKSG_,"axG",@progbits,_ZN9rocsparseL16kernel_calculateILi1024ELi8ELb1E21rocsparse_complex_numIdEiiEEvT4_T3_PKS4_S6_PKS3_PKT2_21rocsparse_index_base_S6_S6_S8_S6_S6_S8_S6_PS9_PNS_15floating_traitsIS9_E6data_tEPKSG_,comdat
.Lfunc_end59:
	.size	_ZN9rocsparseL16kernel_calculateILi1024ELi8ELb1E21rocsparse_complex_numIdEiiEEvT4_T3_PKS4_S6_PKS3_PKT2_21rocsparse_index_base_S6_S6_S8_S6_S6_S8_S6_PS9_PNS_15floating_traitsIS9_E6data_tEPKSG_, .Lfunc_end59-_ZN9rocsparseL16kernel_calculateILi1024ELi8ELb1E21rocsparse_complex_numIdEiiEEvT4_T3_PKS4_S6_PKS3_PKT2_21rocsparse_index_base_S6_S6_S8_S6_S6_S8_S6_PS9_PNS_15floating_traitsIS9_E6data_tEPKSG_
                                        ; -- End function
	.set _ZN9rocsparseL16kernel_calculateILi1024ELi8ELb1E21rocsparse_complex_numIdEiiEEvT4_T3_PKS4_S6_PKS3_PKT2_21rocsparse_index_base_S6_S6_S8_S6_S6_S8_S6_PS9_PNS_15floating_traitsIS9_E6data_tEPKSG_.num_vgpr, 50
	.set _ZN9rocsparseL16kernel_calculateILi1024ELi8ELb1E21rocsparse_complex_numIdEiiEEvT4_T3_PKS4_S6_PKS3_PKT2_21rocsparse_index_base_S6_S6_S8_S6_S6_S8_S6_PS9_PNS_15floating_traitsIS9_E6data_tEPKSG_.num_agpr, 0
	.set _ZN9rocsparseL16kernel_calculateILi1024ELi8ELb1E21rocsparse_complex_numIdEiiEEvT4_T3_PKS4_S6_PKS3_PKT2_21rocsparse_index_base_S6_S6_S8_S6_S6_S8_S6_PS9_PNS_15floating_traitsIS9_E6data_tEPKSG_.numbered_sgpr, 62
	.set _ZN9rocsparseL16kernel_calculateILi1024ELi8ELb1E21rocsparse_complex_numIdEiiEEvT4_T3_PKS4_S6_PKS3_PKT2_21rocsparse_index_base_S6_S6_S8_S6_S6_S8_S6_PS9_PNS_15floating_traitsIS9_E6data_tEPKSG_.num_named_barrier, 0
	.set _ZN9rocsparseL16kernel_calculateILi1024ELi8ELb1E21rocsparse_complex_numIdEiiEEvT4_T3_PKS4_S6_PKS3_PKT2_21rocsparse_index_base_S6_S6_S8_S6_S6_S8_S6_PS9_PNS_15floating_traitsIS9_E6data_tEPKSG_.private_seg_size, 0
	.set _ZN9rocsparseL16kernel_calculateILi1024ELi8ELb1E21rocsparse_complex_numIdEiiEEvT4_T3_PKS4_S6_PKS3_PKT2_21rocsparse_index_base_S6_S6_S8_S6_S6_S8_S6_PS9_PNS_15floating_traitsIS9_E6data_tEPKSG_.uses_vcc, 1
	.set _ZN9rocsparseL16kernel_calculateILi1024ELi8ELb1E21rocsparse_complex_numIdEiiEEvT4_T3_PKS4_S6_PKS3_PKT2_21rocsparse_index_base_S6_S6_S8_S6_S6_S8_S6_PS9_PNS_15floating_traitsIS9_E6data_tEPKSG_.uses_flat_scratch, 0
	.set _ZN9rocsparseL16kernel_calculateILi1024ELi8ELb1E21rocsparse_complex_numIdEiiEEvT4_T3_PKS4_S6_PKS3_PKT2_21rocsparse_index_base_S6_S6_S8_S6_S6_S8_S6_PS9_PNS_15floating_traitsIS9_E6data_tEPKSG_.has_dyn_sized_stack, 0
	.set _ZN9rocsparseL16kernel_calculateILi1024ELi8ELb1E21rocsparse_complex_numIdEiiEEvT4_T3_PKS4_S6_PKS3_PKT2_21rocsparse_index_base_S6_S6_S8_S6_S6_S8_S6_PS9_PNS_15floating_traitsIS9_E6data_tEPKSG_.has_recursion, 0
	.set _ZN9rocsparseL16kernel_calculateILi1024ELi8ELb1E21rocsparse_complex_numIdEiiEEvT4_T3_PKS4_S6_PKS3_PKT2_21rocsparse_index_base_S6_S6_S8_S6_S6_S8_S6_PS9_PNS_15floating_traitsIS9_E6data_tEPKSG_.has_indirect_call, 0
	.section	.AMDGPU.csdata,"",@progbits
; Kernel info:
; codeLenInByte = 3268
; TotalNumSgprs: 68
; NumVgprs: 50
; NumAgprs: 0
; TotalNumVgprs: 50
; ScratchSize: 0
; MemoryBound: 1
; FloatMode: 240
; IeeeMode: 1
; LDSByteSize: 1024 bytes/workgroup (compile time only)
; SGPRBlocks: 8
; VGPRBlocks: 6
; NumSGPRsForWavesPerEU: 68
; NumVGPRsForWavesPerEU: 50
; AccumOffset: 52
; Occupancy: 8
; WaveLimiterHint : 1
; COMPUTE_PGM_RSRC2:SCRATCH_EN: 0
; COMPUTE_PGM_RSRC2:USER_SGPR: 2
; COMPUTE_PGM_RSRC2:TRAP_HANDLER: 0
; COMPUTE_PGM_RSRC2:TGID_X_EN: 1
; COMPUTE_PGM_RSRC2:TGID_Y_EN: 0
; COMPUTE_PGM_RSRC2:TGID_Z_EN: 0
; COMPUTE_PGM_RSRC2:TIDIG_COMP_CNT: 0
; COMPUTE_PGM_RSRC3_GFX90A:ACCUM_OFFSET: 12
; COMPUTE_PGM_RSRC3_GFX90A:TG_SPLIT: 0
	.section	.text._ZN9rocsparseL16kernel_calculateILi1024ELi16ELb1E21rocsparse_complex_numIdEiiEEvT4_T3_PKS4_S6_PKS3_PKT2_21rocsparse_index_base_S6_S6_S8_S6_S6_S8_S6_PS9_PNS_15floating_traitsIS9_E6data_tEPKSG_,"axG",@progbits,_ZN9rocsparseL16kernel_calculateILi1024ELi16ELb1E21rocsparse_complex_numIdEiiEEvT4_T3_PKS4_S6_PKS3_PKT2_21rocsparse_index_base_S6_S6_S8_S6_S6_S8_S6_PS9_PNS_15floating_traitsIS9_E6data_tEPKSG_,comdat
	.globl	_ZN9rocsparseL16kernel_calculateILi1024ELi16ELb1E21rocsparse_complex_numIdEiiEEvT4_T3_PKS4_S6_PKS3_PKT2_21rocsparse_index_base_S6_S6_S8_S6_S6_S8_S6_PS9_PNS_15floating_traitsIS9_E6data_tEPKSG_ ; -- Begin function _ZN9rocsparseL16kernel_calculateILi1024ELi16ELb1E21rocsparse_complex_numIdEiiEEvT4_T3_PKS4_S6_PKS3_PKT2_21rocsparse_index_base_S6_S6_S8_S6_S6_S8_S6_PS9_PNS_15floating_traitsIS9_E6data_tEPKSG_
	.p2align	8
	.type	_ZN9rocsparseL16kernel_calculateILi1024ELi16ELb1E21rocsparse_complex_numIdEiiEEvT4_T3_PKS4_S6_PKS3_PKT2_21rocsparse_index_base_S6_S6_S8_S6_S6_S8_S6_PS9_PNS_15floating_traitsIS9_E6data_tEPKSG_,@function
_ZN9rocsparseL16kernel_calculateILi1024ELi16ELb1E21rocsparse_complex_numIdEiiEEvT4_T3_PKS4_S6_PKS3_PKT2_21rocsparse_index_base_S6_S6_S8_S6_S6_S8_S6_PS9_PNS_15floating_traitsIS9_E6data_tEPKSG_: ; @_ZN9rocsparseL16kernel_calculateILi1024ELi16ELb1E21rocsparse_complex_numIdEiiEEvT4_T3_PKS4_S6_PKS3_PKT2_21rocsparse_index_base_S6_S6_S8_S6_S6_S8_S6_PS9_PNS_15floating_traitsIS9_E6data_tEPKSG_
; %bb.0:
	s_load_dword s33, s[0:1], 0x0
	v_lshrrev_b32_e32 v1, 4, v0
	v_lshl_or_b32 v31, s2, 10, v1
	v_and_b32_e32 v30, 15, v0
	v_mov_b64_e32 v[14:15], 0
	s_waitcnt lgkmcnt(0)
	v_cmp_gt_i32_e32 vcc, s33, v31
	s_and_saveexec_b64 s[6:7], vcc
	s_cbranch_execz .LBB60_47
; %bb.1:
	s_load_dword s56, s[0:1], 0x28
	s_load_dwordx8 s[8:15], s[0:1], 0x50
	s_load_dwordx8 s[16:23], s[0:1], 0x30
	;; [unrolled: 1-line block ×3, first 2 shown]
	s_mov_b32 s34, 0
	s_mov_b32 s36, 0
	;; [unrolled: 1-line block ×3, first 2 shown]
	v_mov_b64_e32 v[14:15], 0
	s_waitcnt lgkmcnt(0)
	v_subrev_u32_e32 v32, s56, v30
	s_mov_b32 s57, 0
	s_brev_b32 s35, 1
	s_brev_b32 s37, 8
	v_mov_b32_e32 v33, 0x260
	s_movk_i32 s58, 0x1f8
	s_mov_b32 s39, 0x7ff00000
	v_mov_b32_e32 v34, 0x100
	v_mov_b32_e32 v35, 0xffffff80
	s_branch .LBB60_5
.LBB60_2:                               ;   in Loop: Header=BB60_5 Depth=1
	s_or_b64 exec, exec, s[44:45]
.LBB60_3:                               ;   in Loop: Header=BB60_5 Depth=1
	s_or_b64 exec, exec, s[42:43]
.LBB60_4:                               ;   in Loop: Header=BB60_5 Depth=1
	s_or_b64 exec, exec, s[40:41]
	s_add_i32 s57, s57, 1
	s_cmp_lg_u32 s57, 16
	s_cbranch_scc0 .LBB60_47
.LBB60_5:                               ; =>This Loop Header: Depth=1
                                        ;     Child Loop BB60_9 Depth 2
                                        ;       Child Loop BB60_12 Depth 3
                                        ;       Child Loop BB60_20 Depth 3
	;; [unrolled: 1-line block ×3, first 2 shown]
	v_lshl_add_u32 v16, s57, 6, v31
	v_cmp_gt_i32_e32 vcc, s33, v16
	s_and_saveexec_b64 s[40:41], vcc
	s_cbranch_execz .LBB60_4
; %bb.6:                                ;   in Loop: Header=BB60_5 Depth=1
	v_ashrrev_i32_e32 v17, 31, v16
	v_lshlrev_b64 v[2:3], 2, v[16:17]
	v_lshl_add_u64 v[4:5], s[26:27], 0, v[2:3]
	global_load_dword v6, v[4:5], off
	v_lshl_add_u64 v[4:5], s[24:25], 0, v[2:3]
	global_load_dword v4, v[4:5], off
	s_waitcnt vmcnt(1)
	v_subrev_u32_e32 v17, s56, v6
	s_waitcnt vmcnt(0)
	v_add_u32_e32 v18, v32, v4
	v_cmp_lt_i32_e32 vcc, v18, v17
	s_and_saveexec_b64 s[42:43], vcc
	s_cbranch_execz .LBB60_3
; %bb.7:                                ;   in Loop: Header=BB60_5 Depth=1
	v_lshl_add_u64 v[4:5], s[18:19], 0, v[2:3]
	v_lshl_add_u64 v[2:3], s[16:17], 0, v[2:3]
	global_load_dword v4, v[4:5], off
	s_mov_b64 s[44:45], 0
	global_load_dword v2, v[2:3], off
	s_waitcnt vmcnt(1)
	v_subrev_u32_e32 v36, s56, v4
	s_waitcnt vmcnt(0)
	v_subrev_u32_e32 v37, s56, v2
	v_cmp_lt_i32_e64 s[2:3], v2, v4
	s_branch .LBB60_9
.LBB60_8:                               ;   in Loop: Header=BB60_9 Depth=2
	s_or_b64 exec, exec, s[4:5]
	v_cmp_nlg_f64_e64 s[4:5], |v[6:7]|, s[38:39]
	v_cmp_gt_f64_e32 vcc, v[14:15], v[6:7]
	v_add_u32_e32 v18, 16, v18
	s_or_b64 vcc, s[4:5], vcc
	v_cmp_ge_i32_e64 s[4:5], v18, v17
	v_cndmask_b32_e32 v15, v7, v15, vcc
	s_or_b64 s[44:45], s[4:5], s[44:45]
	v_cndmask_b32_e32 v14, v6, v14, vcc
	s_andn2_b64 exec, exec, s[44:45]
	s_cbranch_execz .LBB60_2
.LBB60_9:                               ;   Parent Loop BB60_5 Depth=1
                                        ; =>  This Loop Header: Depth=2
                                        ;       Child Loop BB60_12 Depth 3
                                        ;       Child Loop BB60_20 Depth 3
	;; [unrolled: 1-line block ×3, first 2 shown]
	v_ashrrev_i32_e32 v19, 31, v18
	v_lshl_add_u64 v[2:3], v[18:19], 2, s[28:29]
	global_load_dword v38, v[2:3], off
	v_mov_b64_e32 v[26:27], 0
	v_mov_b32_e32 v22, v37
	v_mov_b64_e32 v[28:29], 0
	s_waitcnt vmcnt(0)
	v_subrev_u32_e32 v20, s56, v38
	v_ashrrev_i32_e32 v21, 31, v20
	v_lshlrev_b64 v[2:3], 2, v[20:21]
	v_lshl_add_u64 v[4:5], s[18:19], 0, v[2:3]
	global_load_dword v6, v[4:5], off
	v_lshl_add_u64 v[4:5], s[8:9], 0, v[2:3]
	v_lshl_add_u64 v[2:3], s[22:23], 0, v[2:3]
	global_load_dword v4, v[4:5], off
	s_waitcnt vmcnt(0)
	v_subrev_u32_e32 v21, s56, v4
	global_load_dword v5, v[2:3], off
	v_lshl_add_u64 v[2:3], v[18:19], 4, s[30:31]
	global_load_dwordx4 v[10:13], v[2:3], off
	v_subrev_u32_e32 v2, s56, v6
	v_ashrrev_i32_e32 v3, 31, v2
	v_lshl_add_u64 v[2:3], v[2:3], 4, s[14:15]
	global_load_dwordx4 v[6:9], v[2:3], off
	s_waitcnt vmcnt(2)
	v_cmp_lt_i32_e32 vcc, v5, v4
	v_subrev_u32_e32 v24, s56, v5
	s_and_b64 s[4:5], s[2:3], vcc
	s_and_saveexec_b64 s[46:47], s[4:5]
	s_cbranch_execz .LBB60_15
; %bb.10:                               ;   in Loop: Header=BB60_9 Depth=2
	v_mov_b64_e32 v[26:27], 0
	s_mov_b64 s[48:49], 0
	v_mov_b32_e32 v22, v37
	v_mov_b64_e32 v[28:29], 0
	s_branch .LBB60_12
.LBB60_11:                              ;   in Loop: Header=BB60_12 Depth=3
	s_or_b64 exec, exec, s[4:5]
	v_cmp_le_i32_e32 vcc, v2, v3
	s_nop 1
	v_addc_co_u32_e32 v22, vcc, 0, v22, vcc
	v_cmp_ge_i32_e32 vcc, v2, v3
	s_nop 1
	v_addc_co_u32_e32 v24, vcc, 0, v24, vcc
	v_cmp_ge_i32_e32 vcc, v22, v36
	v_cmp_ge_i32_e64 s[4:5], v24, v21
	s_or_b64 s[4:5], vcc, s[4:5]
	s_and_b64 s[4:5], exec, s[4:5]
	s_or_b64 s[48:49], s[4:5], s[48:49]
	s_andn2_b64 exec, exec, s[48:49]
	s_cbranch_execz .LBB60_14
.LBB60_12:                              ;   Parent Loop BB60_5 Depth=1
                                        ;     Parent Loop BB60_9 Depth=2
                                        ; =>    This Inner Loop Header: Depth=3
	v_ashrrev_i32_e32 v23, 31, v22
	v_ashrrev_i32_e32 v25, 31, v24
	v_lshl_add_u64 v[2:3], v[22:23], 2, s[20:21]
	v_lshl_add_u64 v[4:5], v[24:25], 2, s[10:11]
	global_load_dword v2, v[2:3], off
	s_nop 0
	global_load_dword v3, v[4:5], off
	s_waitcnt vmcnt(0)
	v_cmp_eq_u32_e32 vcc, v2, v3
	s_and_saveexec_b64 s[4:5], vcc
	s_cbranch_execz .LBB60_11
; %bb.13:                               ;   in Loop: Header=BB60_12 Depth=3
	v_lshl_add_u64 v[4:5], v[24:25], 2, s[12:13]
	global_load_dword v4, v[4:5], off
	v_lshl_add_u64 v[40:41], v[22:23], 4, s[14:15]
	global_load_dwordx4 v[40:43], v[40:41], off
	s_waitcnt vmcnt(1)
	v_ashrrev_i32_e32 v5, 31, v4
	v_lshl_add_u64 v[4:5], v[4:5], 4, s[14:15]
	global_load_dwordx4 v[44:47], v[4:5], off
	s_waitcnt vmcnt(0)
	v_fmac_f64_e32 v[26:27], v[40:41], v[44:45]
	v_fmac_f64_e32 v[28:29], v[42:43], v[44:45]
	v_fma_f64 v[26:27], -v[42:43], v[46:47], v[26:27]
	v_fmac_f64_e32 v[28:29], v[40:41], v[46:47]
	s_branch .LBB60_11
.LBB60_14:                              ;   in Loop: Header=BB60_9 Depth=2
	s_or_b64 exec, exec, s[48:49]
.LBB60_15:                              ;   in Loop: Header=BB60_9 Depth=2
	s_or_b64 exec, exec, s[46:47]
	s_waitcnt vmcnt(1)
	v_add_f64 v[2:3], v[10:11], -v[26:27]
	v_add_f64 v[4:5], v[12:13], -v[28:29]
	v_cmp_gt_i32_e32 vcc, v16, v20
	s_and_saveexec_b64 s[4:5], vcc
	s_cbranch_execz .LBB60_17
; %bb.16:                               ;   in Loop: Header=BB60_9 Depth=2
	s_waitcnt vmcnt(0)
	v_mul_f64 v[40:41], v[8:9], v[8:9]
	v_fmac_f64_e32 v[40:41], v[6:7], v[6:7]
	v_div_scale_f64 v[42:43], s[46:47], v[40:41], v[40:41], 1.0
	v_rcp_f64_e32 v[44:45], v[42:43]
	v_div_scale_f64 v[46:47], vcc, 1.0, v[40:41], 1.0
	v_fma_f64 v[48:49], -v[42:43], v[44:45], 1.0
	v_fmac_f64_e32 v[44:45], v[44:45], v[48:49]
	v_fma_f64 v[48:49], -v[42:43], v[44:45], 1.0
	v_fmac_f64_e32 v[44:45], v[44:45], v[48:49]
	v_mul_f64 v[48:49], v[46:47], v[44:45]
	v_fma_f64 v[42:43], -v[42:43], v[48:49], v[46:47]
	v_div_fmas_f64 v[42:43], v[42:43], v[44:45], v[48:49]
	v_div_fixup_f64 v[40:41], v[42:43], v[40:41], 1.0
	v_mul_f64 v[42:43], v[8:9], v[4:5]
	v_fmac_f64_e32 v[42:43], v[2:3], v[6:7]
	v_mul_f64 v[2:3], v[8:9], -v[2:3]
	v_mul_f64 v[42:43], v[40:41], v[42:43]
	v_fmac_f64_e32 v[2:3], v[4:5], v[6:7]
	v_mul_f64 v[4:5], v[40:41], v[2:3]
	v_mov_b64_e32 v[2:3], v[42:43]
.LBB60_17:                              ;   in Loop: Header=BB60_9 Depth=2
	s_or_b64 exec, exec, s[4:5]
	v_add_f64 v[10:11], v[26:27], -v[10:11]
	v_add_f64 v[12:13], v[28:29], -v[12:13]
	v_cmp_lt_i32_e32 vcc, v24, v21
	s_and_saveexec_b64 s[4:5], vcc
	s_cbranch_execz .LBB60_25
; %bb.18:                               ;   in Loop: Header=BB60_9 Depth=2
	v_ashrrev_i32_e32 v25, 31, v24
	v_lshl_add_u64 v[26:27], v[24:25], 2, s[10:11]
	s_mov_b64 s[48:49], 0
                                        ; implicit-def: $sgpr46_sgpr47
                                        ; implicit-def: $sgpr52_sgpr53
                                        ; implicit-def: $sgpr50_sgpr51
	s_branch .LBB60_20
.LBB60_19:                              ;   in Loop: Header=BB60_20 Depth=3
	s_or_b64 exec, exec, s[54:55]
	s_and_b64 s[54:55], exec, s[52:53]
	s_or_b64 s[48:49], s[54:55], s[48:49]
	s_andn2_b64 s[46:47], s[46:47], exec
	s_and_b64 s[54:55], s[50:51], exec
	s_or_b64 s[46:47], s[46:47], s[54:55]
	s_andn2_b64 exec, exec, s[48:49]
	s_cbranch_execz .LBB60_22
.LBB60_20:                              ;   Parent Loop BB60_5 Depth=1
                                        ;     Parent Loop BB60_9 Depth=2
                                        ; =>    This Inner Loop Header: Depth=3
	global_load_dword v23, v[26:27], off
	v_mov_b64_e32 v[28:29], v[24:25]
	s_or_b64 s[50:51], s[50:51], exec
	s_or_b64 s[52:53], s[52:53], exec
                                        ; implicit-def: $vgpr24_vgpr25
	s_waitcnt vmcnt(0)
	v_subrev_u32_e32 v23, s56, v23
	v_cmp_ne_u32_e32 vcc, v23, v16
	s_and_saveexec_b64 s[54:55], vcc
	s_cbranch_execz .LBB60_19
; %bb.21:                               ;   in Loop: Header=BB60_20 Depth=3
	v_lshl_add_u64 v[24:25], v[28:29], 0, 1
	v_cmp_ge_i32_e32 vcc, v24, v21
	s_andn2_b64 s[52:53], s[52:53], exec
	s_and_b64 s[60:61], vcc, exec
	v_lshl_add_u64 v[26:27], v[26:27], 0, 4
	s_andn2_b64 s[50:51], s[50:51], exec
	s_or_b64 s[52:53], s[52:53], s[60:61]
	s_branch .LBB60_19
.LBB60_22:                              ;   in Loop: Header=BB60_9 Depth=2
	s_or_b64 exec, exec, s[48:49]
	s_and_saveexec_b64 s[48:49], s[46:47]
	s_xor_b64 s[46:47], exec, s[48:49]
	s_cbranch_execz .LBB60_24
; %bb.23:                               ;   in Loop: Header=BB60_9 Depth=2
	v_lshl_add_u64 v[24:25], v[28:29], 2, s[12:13]
	global_load_dword v24, v[24:25], off
	s_waitcnt vmcnt(0)
	v_ashrrev_i32_e32 v25, 31, v24
	v_lshl_add_u64 v[24:25], v[24:25], 4, s[14:15]
	global_load_dwordx4 v[24:27], v[24:25], off
	s_waitcnt vmcnt(0)
	v_add_f64 v[10:11], v[10:11], v[24:25]
	v_add_f64 v[12:13], v[12:13], v[26:27]
.LBB60_24:                              ;   in Loop: Header=BB60_9 Depth=2
	s_or_b64 exec, exec, s[46:47]
.LBB60_25:                              ;   in Loop: Header=BB60_9 Depth=2
	s_or_b64 exec, exec, s[4:5]
	v_cmp_lt_i32_e32 vcc, v22, v36
	s_and_saveexec_b64 s[4:5], vcc
	s_cbranch_execz .LBB60_33
; %bb.26:                               ;   in Loop: Header=BB60_9 Depth=2
	v_ashrrev_i32_e32 v23, 31, v22
	v_lshl_add_u64 v[24:25], v[22:23], 2, s[20:21]
	s_mov_b64 s[48:49], 0
                                        ; implicit-def: $sgpr46_sgpr47
                                        ; implicit-def: $sgpr52_sgpr53
                                        ; implicit-def: $sgpr50_sgpr51
	s_branch .LBB60_28
.LBB60_27:                              ;   in Loop: Header=BB60_28 Depth=3
	s_or_b64 exec, exec, s[54:55]
	s_and_b64 s[54:55], exec, s[52:53]
	s_or_b64 s[48:49], s[54:55], s[48:49]
	s_andn2_b64 s[46:47], s[46:47], exec
	s_and_b64 s[54:55], s[50:51], exec
	s_or_b64 s[46:47], s[46:47], s[54:55]
	s_andn2_b64 exec, exec, s[48:49]
	s_cbranch_execz .LBB60_30
.LBB60_28:                              ;   Parent Loop BB60_5 Depth=1
                                        ;     Parent Loop BB60_9 Depth=2
                                        ; =>    This Inner Loop Header: Depth=3
	global_load_dword v21, v[24:25], off
	v_mov_b64_e32 v[26:27], v[22:23]
	s_or_b64 s[50:51], s[50:51], exec
	s_or_b64 s[52:53], s[52:53], exec
                                        ; implicit-def: $vgpr22_vgpr23
	s_waitcnt vmcnt(0)
	v_cmp_ne_u32_e32 vcc, v21, v38
	s_and_saveexec_b64 s[54:55], vcc
	s_cbranch_execz .LBB60_27
; %bb.29:                               ;   in Loop: Header=BB60_28 Depth=3
	v_lshl_add_u64 v[22:23], v[26:27], 0, 1
	v_cmp_ge_i32_e32 vcc, v22, v36
	s_andn2_b64 s[52:53], s[52:53], exec
	s_and_b64 s[60:61], vcc, exec
	v_lshl_add_u64 v[24:25], v[24:25], 0, 4
	s_andn2_b64 s[50:51], s[50:51], exec
	s_or_b64 s[52:53], s[52:53], s[60:61]
	s_branch .LBB60_27
.LBB60_30:                              ;   in Loop: Header=BB60_9 Depth=2
	s_or_b64 exec, exec, s[48:49]
	s_and_saveexec_b64 s[48:49], s[46:47]
	s_xor_b64 s[46:47], exec, s[48:49]
	s_cbranch_execz .LBB60_32
; %bb.31:                               ;   in Loop: Header=BB60_9 Depth=2
	v_lshl_add_u64 v[22:23], v[26:27], 4, s[14:15]
	global_load_dwordx4 v[22:25], v[22:23], off
	s_waitcnt vmcnt(0)
	v_fmac_f64_e32 v[10:11], v[22:23], v[6:7]
	v_fmac_f64_e32 v[12:13], v[24:25], v[6:7]
	v_fma_f64 v[10:11], -v[24:25], v[8:9], v[10:11]
	v_fmac_f64_e32 v[12:13], v[22:23], v[8:9]
.LBB60_32:                              ;   in Loop: Header=BB60_9 Depth=2
	s_or_b64 exec, exec, s[46:47]
.LBB60_33:                              ;   in Loop: Header=BB60_9 Depth=2
	s_or_b64 exec, exec, s[4:5]
	s_waitcnt vmcnt(0)
	v_add_f64 v[6:7], v[6:7], v[10:11]
	v_add_f64 v[8:9], v[8:9], v[12:13]
	v_cmp_eq_u32_e32 vcc, v16, v20
	s_nop 1
	v_cndmask_b32_e32 v12, v12, v8, vcc
	v_cndmask_b32_e32 v8, v10, v6, vcc
	;; [unrolled: 1-line block ×4, first 2 shown]
	v_xor_b32_e32 v9, 0x80000000, v6
	v_cmp_lt_f64_e32 vcc, s[34:35], v[8:9]
	v_mov_b32_e32 v10, v12
	s_nop 0
	v_cndmask_b32_e32 v9, v6, v9, vcc
	v_xor_b32_e32 v6, 0x80000000, v13
	v_cmp_gt_f64_e32 vcc, 0, v[12:13]
	s_nop 1
	v_cndmask_b32_e32 v11, v13, v6, vcc
	v_cmp_ngt_f64_e32 vcc, v[8:9], v[10:11]
                                        ; implicit-def: $vgpr6_vgpr7
	s_and_saveexec_b64 s[4:5], vcc
	s_xor_b64 s[4:5], exec, s[4:5]
	s_cbranch_execz .LBB60_37
; %bb.34:                               ;   in Loop: Header=BB60_9 Depth=2
	v_mov_b64_e32 v[6:7], 0
	v_cmp_neq_f64_e32 vcc, 0, v[12:13]
	s_and_saveexec_b64 s[46:47], vcc
	s_cbranch_execz .LBB60_36
; %bb.35:                               ;   in Loop: Header=BB60_9 Depth=2
	v_div_scale_f64 v[6:7], s[48:49], v[10:11], v[10:11], v[8:9]
	v_rcp_f64_e32 v[12:13], v[6:7]
	v_div_scale_f64 v[20:21], vcc, v[8:9], v[10:11], v[8:9]
	v_fma_f64 v[22:23], -v[6:7], v[12:13], 1.0
	v_fmac_f64_e32 v[12:13], v[12:13], v[22:23]
	v_fma_f64 v[22:23], -v[6:7], v[12:13], 1.0
	v_fmac_f64_e32 v[12:13], v[12:13], v[22:23]
	v_mul_f64 v[22:23], v[20:21], v[12:13]
	v_fma_f64 v[6:7], -v[6:7], v[22:23], v[20:21]
	v_div_fmas_f64 v[6:7], v[6:7], v[12:13], v[22:23]
	v_div_fixup_f64 v[6:7], v[6:7], v[10:11], v[8:9]
	v_fma_f64 v[6:7], v[6:7], v[6:7], 1.0
	v_cmp_gt_f64_e32 vcc, s[36:37], v[6:7]
	s_nop 1
	v_cndmask_b32_e32 v8, 0, v34, vcc
	v_ldexp_f64 v[6:7], v[6:7], v8
	v_rsq_f64_e32 v[8:9], v[6:7]
	s_nop 0
	v_mul_f64 v[12:13], v[6:7], v[8:9]
	v_mul_f64 v[8:9], v[8:9], 0.5
	v_fma_f64 v[20:21], -v[8:9], v[12:13], 0.5
	v_fmac_f64_e32 v[12:13], v[12:13], v[20:21]
	v_fma_f64 v[22:23], -v[12:13], v[12:13], v[6:7]
	v_fmac_f64_e32 v[8:9], v[8:9], v[20:21]
	v_fmac_f64_e32 v[12:13], v[22:23], v[8:9]
	v_fma_f64 v[20:21], -v[12:13], v[12:13], v[6:7]
	v_fmac_f64_e32 v[12:13], v[20:21], v[8:9]
	v_cndmask_b32_e32 v8, 0, v35, vcc
	v_ldexp_f64 v[8:9], v[12:13], v8
	v_cmp_class_f64_e32 vcc, v[6:7], v33
	s_nop 1
	v_cndmask_b32_e32 v7, v9, v7, vcc
	v_cndmask_b32_e32 v6, v8, v6, vcc
	v_mul_f64 v[6:7], v[10:11], v[6:7]
.LBB60_36:                              ;   in Loop: Header=BB60_9 Depth=2
	s_or_b64 exec, exec, s[46:47]
                                        ; implicit-def: $vgpr8_vgpr9
                                        ; implicit-def: $vgpr10_vgpr11
.LBB60_37:                              ;   in Loop: Header=BB60_9 Depth=2
	s_andn2_saveexec_b64 s[4:5], s[4:5]
	s_cbranch_execz .LBB60_39
; %bb.38:                               ;   in Loop: Header=BB60_9 Depth=2
	v_div_scale_f64 v[6:7], s[46:47], v[8:9], v[8:9], v[10:11]
	v_rcp_f64_e32 v[12:13], v[6:7]
	v_div_scale_f64 v[20:21], vcc, v[10:11], v[8:9], v[10:11]
	v_fma_f64 v[22:23], -v[6:7], v[12:13], 1.0
	v_fmac_f64_e32 v[12:13], v[12:13], v[22:23]
	v_fma_f64 v[22:23], -v[6:7], v[12:13], 1.0
	v_fmac_f64_e32 v[12:13], v[12:13], v[22:23]
	v_mul_f64 v[22:23], v[20:21], v[12:13]
	v_fma_f64 v[6:7], -v[6:7], v[22:23], v[20:21]
	v_div_fmas_f64 v[6:7], v[6:7], v[12:13], v[22:23]
	v_div_fixup_f64 v[6:7], v[6:7], v[8:9], v[10:11]
	v_fma_f64 v[6:7], v[6:7], v[6:7], 1.0
	v_cmp_gt_f64_e32 vcc, s[36:37], v[6:7]
	s_nop 1
	v_cndmask_b32_e32 v10, 0, v34, vcc
	v_ldexp_f64 v[6:7], v[6:7], v10
	v_rsq_f64_e32 v[10:11], v[6:7]
	s_nop 0
	v_mul_f64 v[12:13], v[6:7], v[10:11]
	v_mul_f64 v[10:11], v[10:11], 0.5
	v_fma_f64 v[20:21], -v[10:11], v[12:13], 0.5
	v_fmac_f64_e32 v[12:13], v[12:13], v[20:21]
	v_fma_f64 v[22:23], -v[12:13], v[12:13], v[6:7]
	v_fmac_f64_e32 v[10:11], v[10:11], v[20:21]
	v_fmac_f64_e32 v[12:13], v[22:23], v[10:11]
	v_fma_f64 v[20:21], -v[12:13], v[12:13], v[6:7]
	v_fmac_f64_e32 v[12:13], v[20:21], v[10:11]
	v_cndmask_b32_e32 v10, 0, v35, vcc
	v_ldexp_f64 v[10:11], v[12:13], v10
	v_cmp_class_f64_e32 vcc, v[6:7], v33
	s_nop 1
	v_cndmask_b32_e32 v7, v11, v7, vcc
	v_cndmask_b32_e32 v6, v10, v6, vcc
	v_mul_f64 v[6:7], v[8:9], v[6:7]
.LBB60_39:                              ;   in Loop: Header=BB60_9 Depth=2
	s_or_b64 exec, exec, s[4:5]
	v_xor_b32_e32 v8, 0x80000000, v3
	v_cmp_gt_f64_e32 vcc, 0, v[2:3]
	v_xor_b32_e32 v10, 0x80000000, v5
                                        ; implicit-def: $vgpr12_vgpr13
	s_nop 0
	v_cndmask_b32_e32 v9, v3, v8, vcc
	v_cmp_gt_f64_e32 vcc, 0, v[4:5]
	v_mov_b32_e32 v8, v2
	s_nop 0
	v_cndmask_b32_e32 v11, v5, v10, vcc
	v_mov_b32_e32 v10, v4
	v_cmp_ngt_f64_e32 vcc, v[8:9], v[10:11]
	s_and_saveexec_b64 s[4:5], vcc
	s_xor_b64 s[4:5], exec, s[4:5]
	s_cbranch_execnz .LBB60_42
; %bb.40:                               ;   in Loop: Header=BB60_9 Depth=2
	s_andn2_saveexec_b64 s[4:5], s[4:5]
	s_cbranch_execnz .LBB60_45
.LBB60_41:                              ;   in Loop: Header=BB60_9 Depth=2
	s_or_b64 exec, exec, s[4:5]
	v_cmp_class_f64_e64 s[46:47], v[12:13], s58
	s_and_saveexec_b64 s[4:5], s[46:47]
	s_cbranch_execz .LBB60_8
	s_branch .LBB60_46
.LBB60_42:                              ;   in Loop: Header=BB60_9 Depth=2
	v_mov_b64_e32 v[12:13], 0
	v_cmp_neq_f64_e32 vcc, 0, v[4:5]
	s_and_saveexec_b64 s[46:47], vcc
	s_cbranch_execz .LBB60_44
; %bb.43:                               ;   in Loop: Header=BB60_9 Depth=2
	v_div_scale_f64 v[12:13], s[48:49], v[10:11], v[10:11], v[8:9]
	v_rcp_f64_e32 v[20:21], v[12:13]
	v_div_scale_f64 v[22:23], vcc, v[8:9], v[10:11], v[8:9]
	v_fma_f64 v[24:25], -v[12:13], v[20:21], 1.0
	v_fmac_f64_e32 v[20:21], v[20:21], v[24:25]
	v_fma_f64 v[24:25], -v[12:13], v[20:21], 1.0
	v_fmac_f64_e32 v[20:21], v[20:21], v[24:25]
	v_mul_f64 v[24:25], v[22:23], v[20:21]
	v_fma_f64 v[12:13], -v[12:13], v[24:25], v[22:23]
	v_div_fmas_f64 v[12:13], v[12:13], v[20:21], v[24:25]
	v_div_fixup_f64 v[8:9], v[12:13], v[10:11], v[8:9]
	v_fma_f64 v[8:9], v[8:9], v[8:9], 1.0
	v_cmp_gt_f64_e32 vcc, s[36:37], v[8:9]
	s_nop 1
	v_cndmask_b32_e32 v12, 0, v34, vcc
	v_ldexp_f64 v[8:9], v[8:9], v12
	v_rsq_f64_e32 v[12:13], v[8:9]
	s_nop 0
	v_mul_f64 v[20:21], v[8:9], v[12:13]
	v_mul_f64 v[12:13], v[12:13], 0.5
	v_fma_f64 v[22:23], -v[12:13], v[20:21], 0.5
	v_fmac_f64_e32 v[20:21], v[20:21], v[22:23]
	v_fma_f64 v[24:25], -v[20:21], v[20:21], v[8:9]
	v_fmac_f64_e32 v[12:13], v[12:13], v[22:23]
	v_fmac_f64_e32 v[20:21], v[24:25], v[12:13]
	v_fma_f64 v[22:23], -v[20:21], v[20:21], v[8:9]
	v_fmac_f64_e32 v[20:21], v[22:23], v[12:13]
	v_cndmask_b32_e32 v12, 0, v35, vcc
	v_ldexp_f64 v[12:13], v[20:21], v12
	v_cmp_class_f64_e32 vcc, v[8:9], v33
	s_nop 1
	v_cndmask_b32_e32 v9, v13, v9, vcc
	v_cndmask_b32_e32 v8, v12, v8, vcc
	v_mul_f64 v[12:13], v[10:11], v[8:9]
.LBB60_44:                              ;   in Loop: Header=BB60_9 Depth=2
	s_or_b64 exec, exec, s[46:47]
                                        ; implicit-def: $vgpr8_vgpr9
                                        ; implicit-def: $vgpr10_vgpr11
	s_andn2_saveexec_b64 s[4:5], s[4:5]
	s_cbranch_execz .LBB60_41
.LBB60_45:                              ;   in Loop: Header=BB60_9 Depth=2
	v_div_scale_f64 v[12:13], s[46:47], v[8:9], v[8:9], v[10:11]
	v_rcp_f64_e32 v[20:21], v[12:13]
	v_div_scale_f64 v[22:23], vcc, v[10:11], v[8:9], v[10:11]
	v_fma_f64 v[24:25], -v[12:13], v[20:21], 1.0
	v_fmac_f64_e32 v[20:21], v[20:21], v[24:25]
	v_fma_f64 v[24:25], -v[12:13], v[20:21], 1.0
	v_fmac_f64_e32 v[20:21], v[20:21], v[24:25]
	v_mul_f64 v[24:25], v[22:23], v[20:21]
	v_fma_f64 v[12:13], -v[12:13], v[24:25], v[22:23]
	v_div_fmas_f64 v[12:13], v[12:13], v[20:21], v[24:25]
	v_div_fixup_f64 v[10:11], v[12:13], v[8:9], v[10:11]
	v_fma_f64 v[10:11], v[10:11], v[10:11], 1.0
	v_cmp_gt_f64_e32 vcc, s[36:37], v[10:11]
	s_nop 1
	v_cndmask_b32_e32 v12, 0, v34, vcc
	v_ldexp_f64 v[10:11], v[10:11], v12
	v_rsq_f64_e32 v[12:13], v[10:11]
	s_nop 0
	v_mul_f64 v[20:21], v[10:11], v[12:13]
	v_mul_f64 v[12:13], v[12:13], 0.5
	v_fma_f64 v[22:23], -v[12:13], v[20:21], 0.5
	v_fmac_f64_e32 v[20:21], v[20:21], v[22:23]
	v_fma_f64 v[24:25], -v[20:21], v[20:21], v[10:11]
	v_fmac_f64_e32 v[12:13], v[12:13], v[22:23]
	v_fmac_f64_e32 v[20:21], v[24:25], v[12:13]
	v_fma_f64 v[22:23], -v[20:21], v[20:21], v[10:11]
	v_fmac_f64_e32 v[20:21], v[22:23], v[12:13]
	v_cndmask_b32_e32 v12, 0, v35, vcc
	v_ldexp_f64 v[12:13], v[20:21], v12
	v_cmp_class_f64_e32 vcc, v[10:11], v33
	s_nop 1
	v_cndmask_b32_e32 v11, v13, v11, vcc
	v_cndmask_b32_e32 v10, v12, v10, vcc
	v_mul_f64 v[12:13], v[8:9], v[10:11]
	s_or_b64 exec, exec, s[4:5]
	v_cmp_class_f64_e64 s[46:47], v[12:13], s58
	s_and_saveexec_b64 s[4:5], s[46:47]
	s_cbranch_execz .LBB60_8
.LBB60_46:                              ;   in Loop: Header=BB60_9 Depth=2
	v_lshl_add_u64 v[8:9], v[18:19], 4, s[14:15]
	global_store_dwordx4 v[8:9], v[2:5], off
	s_branch .LBB60_8
.LBB60_47:
	s_or_b64 exec, exec, s[6:7]
	v_mov_b32_dpp v2, v14 row_shr:1 row_mask:0xf bank_mask:0xf
	v_mov_b32_dpp v3, v15 row_shr:1 row_mask:0xf bank_mask:0xf
	v_cmp_lt_f64_e32 vcc, v[14:15], v[2:3]
	s_nop 1
	v_cndmask_b32_e32 v3, v15, v3, vcc
	v_cndmask_b32_e32 v2, v14, v2, vcc
	s_nop 0
	v_mov_b32_dpp v5, v3 row_shr:2 row_mask:0xf bank_mask:0xf
	v_mov_b32_dpp v4, v2 row_shr:2 row_mask:0xf bank_mask:0xf
	v_cmp_lt_f64_e32 vcc, v[2:3], v[4:5]
	s_nop 1
	v_cndmask_b32_e32 v3, v3, v5, vcc
	v_cndmask_b32_e32 v2, v2, v4, vcc
	s_nop 0
	v_mov_b32_dpp v5, v3 row_shr:4 row_mask:0xf bank_mask:0xe
	v_mov_b32_dpp v4, v2 row_shr:4 row_mask:0xf bank_mask:0xe
	v_cmp_lt_f64_e32 vcc, v[2:3], v[4:5]
	s_nop 1
	v_cndmask_b32_e32 v3, v3, v5, vcc
	v_cndmask_b32_e32 v2, v2, v4, vcc
	v_cmp_eq_u32_e32 vcc, 15, v30
	v_mov_b32_dpp v6, v3 row_shr:8 row_mask:0xf bank_mask:0xc
	v_mov_b32_dpp v4, v2 row_shr:8 row_mask:0xf bank_mask:0xc
	s_and_saveexec_b64 s[2:3], vcc
	s_cbranch_execz .LBB60_49
; %bb.48:
	v_mov_b32_e32 v5, v6
	v_cmp_lt_f64_e32 vcc, v[2:3], v[4:5]
	v_lshlrev_b32_e32 v1, 3, v1
	s_nop 0
	v_cndmask_b32_e32 v3, v3, v6, vcc
	v_cndmask_b32_e32 v2, v2, v4, vcc
	ds_write_b64 v1, v[2:3]
.LBB60_49:
	s_or_b64 exec, exec, s[2:3]
	v_cmp_gt_u32_e32 vcc, 32, v0
	v_lshlrev_b32_e32 v1, 3, v0
	s_waitcnt lgkmcnt(0)
	s_barrier
	s_and_saveexec_b64 s[2:3], vcc
	s_cbranch_execz .LBB60_51
; %bb.50:
	ds_read2_b64 v[2:5], v1 offset1:32
	s_waitcnt lgkmcnt(0)
	v_cmp_lt_f64_e32 vcc, v[2:3], v[4:5]
	s_nop 1
	v_cndmask_b32_e32 v3, v3, v5, vcc
	v_cndmask_b32_e32 v2, v2, v4, vcc
	ds_write_b64 v1, v[2:3]
.LBB60_51:
	s_or_b64 exec, exec, s[2:3]
	v_cmp_gt_u32_e32 vcc, 16, v0
	s_waitcnt lgkmcnt(0)
	s_barrier
	s_and_saveexec_b64 s[2:3], vcc
	s_cbranch_execz .LBB60_53
; %bb.52:
	ds_read2_b64 v[2:5], v1 offset1:16
	s_waitcnt lgkmcnt(0)
	v_cmp_lt_f64_e32 vcc, v[2:3], v[4:5]
	s_nop 1
	v_cndmask_b32_e32 v3, v3, v5, vcc
	v_cndmask_b32_e32 v2, v2, v4, vcc
	ds_write_b64 v1, v[2:3]
.LBB60_53:
	s_or_b64 exec, exec, s[2:3]
	v_cmp_gt_u32_e32 vcc, 8, v0
	;; [unrolled: 15-line block ×4, first 2 shown]
	s_waitcnt lgkmcnt(0)
	s_barrier
	s_and_saveexec_b64 s[2:3], vcc
	s_cbranch_execz .LBB60_59
; %bb.58:
	ds_read2_b64 v[2:5], v1 offset1:2
	s_waitcnt lgkmcnt(0)
	v_cmp_lt_f64_e32 vcc, v[2:3], v[4:5]
	s_nop 1
	v_cndmask_b32_e32 v3, v3, v5, vcc
	v_cndmask_b32_e32 v2, v2, v4, vcc
	ds_write_b64 v1, v[2:3]
.LBB60_59:
	s_or_b64 exec, exec, s[2:3]
	v_cmp_eq_u32_e32 vcc, 0, v0
	s_waitcnt lgkmcnt(0)
	s_barrier
	s_and_saveexec_b64 s[4:5], vcc
	s_cbranch_execz .LBB60_61
; %bb.60:
	v_mov_b32_e32 v4, 0
	ds_read_b128 v[0:3], v4
	s_waitcnt lgkmcnt(0)
	v_cmp_lt_f64_e64 s[2:3], v[0:1], v[2:3]
	s_nop 1
	v_cndmask_b32_e64 v1, v1, v3, s[2:3]
	v_cndmask_b32_e64 v0, v0, v2, s[2:3]
	ds_write_b64 v4, v[0:1]
.LBB60_61:
	s_or_b64 exec, exec, s[4:5]
	s_waitcnt lgkmcnt(0)
	s_barrier
	s_and_saveexec_b64 s[2:3], vcc
	s_cbranch_execz .LBB60_64
; %bb.62:
	v_mbcnt_lo_u32_b32 v0, exec_lo, 0
	v_mbcnt_hi_u32_b32 v0, exec_hi, v0
	v_cmp_eq_u32_e32 vcc, 0, v0
	s_and_b64 exec, exec, vcc
	s_cbranch_execz .LBB60_64
; %bb.63:
	s_load_dwordx4 s[0:3], s[0:1], 0x70
	v_mov_b32_e32 v10, 0
	ds_read_b64 v[0:1], v10
	s_waitcnt lgkmcnt(0)
	s_load_dwordx2 s[2:3], s[2:3], 0x0
	s_waitcnt lgkmcnt(0)
	v_div_scale_f64 v[2:3], s[4:5], s[2:3], s[2:3], v[0:1]
	v_rcp_f64_e32 v[4:5], v[2:3]
	v_div_scale_f64 v[6:7], vcc, v[0:1], s[2:3], v[0:1]
	v_fma_f64 v[8:9], -v[2:3], v[4:5], 1.0
	v_fmac_f64_e32 v[4:5], v[4:5], v[8:9]
	v_fma_f64 v[8:9], -v[2:3], v[4:5], 1.0
	v_fmac_f64_e32 v[4:5], v[4:5], v[8:9]
	v_mul_f64 v[8:9], v[6:7], v[4:5]
	v_fma_f64 v[2:3], -v[2:3], v[8:9], v[6:7]
	v_div_fmas_f64 v[2:3], v[2:3], v[4:5], v[8:9]
	v_div_fixup_f64 v[0:1], v[2:3], s[2:3], v[0:1]
	global_atomic_max_f64 v10, v[0:1], s[0:1]
.LBB60_64:
	s_endpgm
	.section	.rodata,"a",@progbits
	.p2align	6, 0x0
	.amdhsa_kernel _ZN9rocsparseL16kernel_calculateILi1024ELi16ELb1E21rocsparse_complex_numIdEiiEEvT4_T3_PKS4_S6_PKS3_PKT2_21rocsparse_index_base_S6_S6_S8_S6_S6_S8_S6_PS9_PNS_15floating_traitsIS9_E6data_tEPKSG_
		.amdhsa_group_segment_fixed_size 512
		.amdhsa_private_segment_fixed_size 0
		.amdhsa_kernarg_size 128
		.amdhsa_user_sgpr_count 2
		.amdhsa_user_sgpr_dispatch_ptr 0
		.amdhsa_user_sgpr_queue_ptr 0
		.amdhsa_user_sgpr_kernarg_segment_ptr 1
		.amdhsa_user_sgpr_dispatch_id 0
		.amdhsa_user_sgpr_kernarg_preload_length 0
		.amdhsa_user_sgpr_kernarg_preload_offset 0
		.amdhsa_user_sgpr_private_segment_size 0
		.amdhsa_uses_dynamic_stack 0
		.amdhsa_enable_private_segment 0
		.amdhsa_system_sgpr_workgroup_id_x 1
		.amdhsa_system_sgpr_workgroup_id_y 0
		.amdhsa_system_sgpr_workgroup_id_z 0
		.amdhsa_system_sgpr_workgroup_info 0
		.amdhsa_system_vgpr_workitem_id 0
		.amdhsa_next_free_vgpr 50
		.amdhsa_next_free_sgpr 62
		.amdhsa_accum_offset 52
		.amdhsa_reserve_vcc 1
		.amdhsa_float_round_mode_32 0
		.amdhsa_float_round_mode_16_64 0
		.amdhsa_float_denorm_mode_32 3
		.amdhsa_float_denorm_mode_16_64 3
		.amdhsa_dx10_clamp 1
		.amdhsa_ieee_mode 1
		.amdhsa_fp16_overflow 0
		.amdhsa_tg_split 0
		.amdhsa_exception_fp_ieee_invalid_op 0
		.amdhsa_exception_fp_denorm_src 0
		.amdhsa_exception_fp_ieee_div_zero 0
		.amdhsa_exception_fp_ieee_overflow 0
		.amdhsa_exception_fp_ieee_underflow 0
		.amdhsa_exception_fp_ieee_inexact 0
		.amdhsa_exception_int_div_zero 0
	.end_amdhsa_kernel
	.section	.text._ZN9rocsparseL16kernel_calculateILi1024ELi16ELb1E21rocsparse_complex_numIdEiiEEvT4_T3_PKS4_S6_PKS3_PKT2_21rocsparse_index_base_S6_S6_S8_S6_S6_S8_S6_PS9_PNS_15floating_traitsIS9_E6data_tEPKSG_,"axG",@progbits,_ZN9rocsparseL16kernel_calculateILi1024ELi16ELb1E21rocsparse_complex_numIdEiiEEvT4_T3_PKS4_S6_PKS3_PKT2_21rocsparse_index_base_S6_S6_S8_S6_S6_S8_S6_PS9_PNS_15floating_traitsIS9_E6data_tEPKSG_,comdat
.Lfunc_end60:
	.size	_ZN9rocsparseL16kernel_calculateILi1024ELi16ELb1E21rocsparse_complex_numIdEiiEEvT4_T3_PKS4_S6_PKS3_PKT2_21rocsparse_index_base_S6_S6_S8_S6_S6_S8_S6_PS9_PNS_15floating_traitsIS9_E6data_tEPKSG_, .Lfunc_end60-_ZN9rocsparseL16kernel_calculateILi1024ELi16ELb1E21rocsparse_complex_numIdEiiEEvT4_T3_PKS4_S6_PKS3_PKT2_21rocsparse_index_base_S6_S6_S8_S6_S6_S8_S6_PS9_PNS_15floating_traitsIS9_E6data_tEPKSG_
                                        ; -- End function
	.set _ZN9rocsparseL16kernel_calculateILi1024ELi16ELb1E21rocsparse_complex_numIdEiiEEvT4_T3_PKS4_S6_PKS3_PKT2_21rocsparse_index_base_S6_S6_S8_S6_S6_S8_S6_PS9_PNS_15floating_traitsIS9_E6data_tEPKSG_.num_vgpr, 50
	.set _ZN9rocsparseL16kernel_calculateILi1024ELi16ELb1E21rocsparse_complex_numIdEiiEEvT4_T3_PKS4_S6_PKS3_PKT2_21rocsparse_index_base_S6_S6_S8_S6_S6_S8_S6_PS9_PNS_15floating_traitsIS9_E6data_tEPKSG_.num_agpr, 0
	.set _ZN9rocsparseL16kernel_calculateILi1024ELi16ELb1E21rocsparse_complex_numIdEiiEEvT4_T3_PKS4_S6_PKS3_PKT2_21rocsparse_index_base_S6_S6_S8_S6_S6_S8_S6_PS9_PNS_15floating_traitsIS9_E6data_tEPKSG_.numbered_sgpr, 62
	.set _ZN9rocsparseL16kernel_calculateILi1024ELi16ELb1E21rocsparse_complex_numIdEiiEEvT4_T3_PKS4_S6_PKS3_PKT2_21rocsparse_index_base_S6_S6_S8_S6_S6_S8_S6_PS9_PNS_15floating_traitsIS9_E6data_tEPKSG_.num_named_barrier, 0
	.set _ZN9rocsparseL16kernel_calculateILi1024ELi16ELb1E21rocsparse_complex_numIdEiiEEvT4_T3_PKS4_S6_PKS3_PKT2_21rocsparse_index_base_S6_S6_S8_S6_S6_S8_S6_PS9_PNS_15floating_traitsIS9_E6data_tEPKSG_.private_seg_size, 0
	.set _ZN9rocsparseL16kernel_calculateILi1024ELi16ELb1E21rocsparse_complex_numIdEiiEEvT4_T3_PKS4_S6_PKS3_PKT2_21rocsparse_index_base_S6_S6_S8_S6_S6_S8_S6_PS9_PNS_15floating_traitsIS9_E6data_tEPKSG_.uses_vcc, 1
	.set _ZN9rocsparseL16kernel_calculateILi1024ELi16ELb1E21rocsparse_complex_numIdEiiEEvT4_T3_PKS4_S6_PKS3_PKT2_21rocsparse_index_base_S6_S6_S8_S6_S6_S8_S6_PS9_PNS_15floating_traitsIS9_E6data_tEPKSG_.uses_flat_scratch, 0
	.set _ZN9rocsparseL16kernel_calculateILi1024ELi16ELb1E21rocsparse_complex_numIdEiiEEvT4_T3_PKS4_S6_PKS3_PKT2_21rocsparse_index_base_S6_S6_S8_S6_S6_S8_S6_PS9_PNS_15floating_traitsIS9_E6data_tEPKSG_.has_dyn_sized_stack, 0
	.set _ZN9rocsparseL16kernel_calculateILi1024ELi16ELb1E21rocsparse_complex_numIdEiiEEvT4_T3_PKS4_S6_PKS3_PKT2_21rocsparse_index_base_S6_S6_S8_S6_S6_S8_S6_PS9_PNS_15floating_traitsIS9_E6data_tEPKSG_.has_recursion, 0
	.set _ZN9rocsparseL16kernel_calculateILi1024ELi16ELb1E21rocsparse_complex_numIdEiiEEvT4_T3_PKS4_S6_PKS3_PKT2_21rocsparse_index_base_S6_S6_S8_S6_S6_S8_S6_PS9_PNS_15floating_traitsIS9_E6data_tEPKSG_.has_indirect_call, 0
	.section	.AMDGPU.csdata,"",@progbits
; Kernel info:
; codeLenInByte = 3244
; TotalNumSgprs: 68
; NumVgprs: 50
; NumAgprs: 0
; TotalNumVgprs: 50
; ScratchSize: 0
; MemoryBound: 1
; FloatMode: 240
; IeeeMode: 1
; LDSByteSize: 512 bytes/workgroup (compile time only)
; SGPRBlocks: 8
; VGPRBlocks: 6
; NumSGPRsForWavesPerEU: 68
; NumVGPRsForWavesPerEU: 50
; AccumOffset: 52
; Occupancy: 8
; WaveLimiterHint : 1
; COMPUTE_PGM_RSRC2:SCRATCH_EN: 0
; COMPUTE_PGM_RSRC2:USER_SGPR: 2
; COMPUTE_PGM_RSRC2:TRAP_HANDLER: 0
; COMPUTE_PGM_RSRC2:TGID_X_EN: 1
; COMPUTE_PGM_RSRC2:TGID_Y_EN: 0
; COMPUTE_PGM_RSRC2:TGID_Z_EN: 0
; COMPUTE_PGM_RSRC2:TIDIG_COMP_CNT: 0
; COMPUTE_PGM_RSRC3_GFX90A:ACCUM_OFFSET: 12
; COMPUTE_PGM_RSRC3_GFX90A:TG_SPLIT: 0
	.section	.text._ZN9rocsparseL16kernel_calculateILi1024ELi32ELb1E21rocsparse_complex_numIdEiiEEvT4_T3_PKS4_S6_PKS3_PKT2_21rocsparse_index_base_S6_S6_S8_S6_S6_S8_S6_PS9_PNS_15floating_traitsIS9_E6data_tEPKSG_,"axG",@progbits,_ZN9rocsparseL16kernel_calculateILi1024ELi32ELb1E21rocsparse_complex_numIdEiiEEvT4_T3_PKS4_S6_PKS3_PKT2_21rocsparse_index_base_S6_S6_S8_S6_S6_S8_S6_PS9_PNS_15floating_traitsIS9_E6data_tEPKSG_,comdat
	.globl	_ZN9rocsparseL16kernel_calculateILi1024ELi32ELb1E21rocsparse_complex_numIdEiiEEvT4_T3_PKS4_S6_PKS3_PKT2_21rocsparse_index_base_S6_S6_S8_S6_S6_S8_S6_PS9_PNS_15floating_traitsIS9_E6data_tEPKSG_ ; -- Begin function _ZN9rocsparseL16kernel_calculateILi1024ELi32ELb1E21rocsparse_complex_numIdEiiEEvT4_T3_PKS4_S6_PKS3_PKT2_21rocsparse_index_base_S6_S6_S8_S6_S6_S8_S6_PS9_PNS_15floating_traitsIS9_E6data_tEPKSG_
	.p2align	8
	.type	_ZN9rocsparseL16kernel_calculateILi1024ELi32ELb1E21rocsparse_complex_numIdEiiEEvT4_T3_PKS4_S6_PKS3_PKT2_21rocsparse_index_base_S6_S6_S8_S6_S6_S8_S6_PS9_PNS_15floating_traitsIS9_E6data_tEPKSG_,@function
_ZN9rocsparseL16kernel_calculateILi1024ELi32ELb1E21rocsparse_complex_numIdEiiEEvT4_T3_PKS4_S6_PKS3_PKT2_21rocsparse_index_base_S6_S6_S8_S6_S6_S8_S6_PS9_PNS_15floating_traitsIS9_E6data_tEPKSG_: ; @_ZN9rocsparseL16kernel_calculateILi1024ELi32ELb1E21rocsparse_complex_numIdEiiEEvT4_T3_PKS4_S6_PKS3_PKT2_21rocsparse_index_base_S6_S6_S8_S6_S6_S8_S6_PS9_PNS_15floating_traitsIS9_E6data_tEPKSG_
; %bb.0:
	s_load_dword s33, s[0:1], 0x0
	v_lshrrev_b32_e32 v1, 5, v0
	v_lshl_or_b32 v31, s2, 10, v1
	v_and_b32_e32 v30, 31, v0
	v_mov_b64_e32 v[14:15], 0
	s_waitcnt lgkmcnt(0)
	v_cmp_gt_i32_e32 vcc, s33, v31
	s_and_saveexec_b64 s[6:7], vcc
	s_cbranch_execz .LBB61_47
; %bb.1:
	s_load_dword s56, s[0:1], 0x28
	s_load_dwordx8 s[8:15], s[0:1], 0x50
	s_load_dwordx8 s[16:23], s[0:1], 0x30
	;; [unrolled: 1-line block ×3, first 2 shown]
	s_mov_b32 s34, 0
	s_mov_b32 s36, 0
	;; [unrolled: 1-line block ×3, first 2 shown]
	v_mov_b64_e32 v[14:15], 0
	s_waitcnt lgkmcnt(0)
	v_subrev_u32_e32 v32, s56, v30
	s_mov_b32 s57, 0
	s_brev_b32 s35, 1
	s_brev_b32 s37, 8
	v_mov_b32_e32 v33, 0x260
	s_movk_i32 s58, 0x1f8
	s_mov_b32 s39, 0x7ff00000
	v_mov_b32_e32 v34, 0x100
	v_mov_b32_e32 v35, 0xffffff80
	s_branch .LBB61_5
.LBB61_2:                               ;   in Loop: Header=BB61_5 Depth=1
	s_or_b64 exec, exec, s[44:45]
.LBB61_3:                               ;   in Loop: Header=BB61_5 Depth=1
	s_or_b64 exec, exec, s[42:43]
.LBB61_4:                               ;   in Loop: Header=BB61_5 Depth=1
	s_or_b64 exec, exec, s[40:41]
	s_add_i32 s57, s57, 1
	s_cmp_lg_u32 s57, 32
	s_cbranch_scc0 .LBB61_47
.LBB61_5:                               ; =>This Loop Header: Depth=1
                                        ;     Child Loop BB61_9 Depth 2
                                        ;       Child Loop BB61_12 Depth 3
                                        ;       Child Loop BB61_20 Depth 3
	;; [unrolled: 1-line block ×3, first 2 shown]
	v_lshl_add_u32 v16, s57, 5, v31
	v_cmp_gt_i32_e32 vcc, s33, v16
	s_and_saveexec_b64 s[40:41], vcc
	s_cbranch_execz .LBB61_4
; %bb.6:                                ;   in Loop: Header=BB61_5 Depth=1
	v_ashrrev_i32_e32 v17, 31, v16
	v_lshlrev_b64 v[2:3], 2, v[16:17]
	v_lshl_add_u64 v[4:5], s[26:27], 0, v[2:3]
	global_load_dword v6, v[4:5], off
	v_lshl_add_u64 v[4:5], s[24:25], 0, v[2:3]
	global_load_dword v4, v[4:5], off
	s_waitcnt vmcnt(1)
	v_subrev_u32_e32 v17, s56, v6
	s_waitcnt vmcnt(0)
	v_add_u32_e32 v18, v32, v4
	v_cmp_lt_i32_e32 vcc, v18, v17
	s_and_saveexec_b64 s[42:43], vcc
	s_cbranch_execz .LBB61_3
; %bb.7:                                ;   in Loop: Header=BB61_5 Depth=1
	v_lshl_add_u64 v[4:5], s[18:19], 0, v[2:3]
	v_lshl_add_u64 v[2:3], s[16:17], 0, v[2:3]
	global_load_dword v4, v[4:5], off
	s_mov_b64 s[44:45], 0
	global_load_dword v2, v[2:3], off
	s_waitcnt vmcnt(1)
	v_subrev_u32_e32 v36, s56, v4
	s_waitcnt vmcnt(0)
	v_subrev_u32_e32 v37, s56, v2
	v_cmp_lt_i32_e64 s[2:3], v2, v4
	s_branch .LBB61_9
.LBB61_8:                               ;   in Loop: Header=BB61_9 Depth=2
	s_or_b64 exec, exec, s[4:5]
	v_cmp_nlg_f64_e64 s[4:5], |v[6:7]|, s[38:39]
	v_cmp_gt_f64_e32 vcc, v[14:15], v[6:7]
	v_add_u32_e32 v18, 32, v18
	s_or_b64 vcc, s[4:5], vcc
	v_cmp_ge_i32_e64 s[4:5], v18, v17
	v_cndmask_b32_e32 v15, v7, v15, vcc
	s_or_b64 s[44:45], s[4:5], s[44:45]
	v_cndmask_b32_e32 v14, v6, v14, vcc
	s_andn2_b64 exec, exec, s[44:45]
	s_cbranch_execz .LBB61_2
.LBB61_9:                               ;   Parent Loop BB61_5 Depth=1
                                        ; =>  This Loop Header: Depth=2
                                        ;       Child Loop BB61_12 Depth 3
                                        ;       Child Loop BB61_20 Depth 3
	;; [unrolled: 1-line block ×3, first 2 shown]
	v_ashrrev_i32_e32 v19, 31, v18
	v_lshl_add_u64 v[2:3], v[18:19], 2, s[28:29]
	global_load_dword v38, v[2:3], off
	v_mov_b64_e32 v[26:27], 0
	v_mov_b32_e32 v22, v37
	v_mov_b64_e32 v[28:29], 0
	s_waitcnt vmcnt(0)
	v_subrev_u32_e32 v20, s56, v38
	v_ashrrev_i32_e32 v21, 31, v20
	v_lshlrev_b64 v[2:3], 2, v[20:21]
	v_lshl_add_u64 v[4:5], s[18:19], 0, v[2:3]
	global_load_dword v6, v[4:5], off
	v_lshl_add_u64 v[4:5], s[8:9], 0, v[2:3]
	v_lshl_add_u64 v[2:3], s[22:23], 0, v[2:3]
	global_load_dword v4, v[4:5], off
	s_waitcnt vmcnt(0)
	v_subrev_u32_e32 v21, s56, v4
	global_load_dword v5, v[2:3], off
	v_lshl_add_u64 v[2:3], v[18:19], 4, s[30:31]
	global_load_dwordx4 v[10:13], v[2:3], off
	v_subrev_u32_e32 v2, s56, v6
	v_ashrrev_i32_e32 v3, 31, v2
	v_lshl_add_u64 v[2:3], v[2:3], 4, s[14:15]
	global_load_dwordx4 v[6:9], v[2:3], off
	s_waitcnt vmcnt(2)
	v_cmp_lt_i32_e32 vcc, v5, v4
	v_subrev_u32_e32 v24, s56, v5
	s_and_b64 s[4:5], s[2:3], vcc
	s_and_saveexec_b64 s[46:47], s[4:5]
	s_cbranch_execz .LBB61_15
; %bb.10:                               ;   in Loop: Header=BB61_9 Depth=2
	v_mov_b64_e32 v[26:27], 0
	s_mov_b64 s[48:49], 0
	v_mov_b32_e32 v22, v37
	v_mov_b64_e32 v[28:29], 0
	s_branch .LBB61_12
.LBB61_11:                              ;   in Loop: Header=BB61_12 Depth=3
	s_or_b64 exec, exec, s[4:5]
	v_cmp_le_i32_e32 vcc, v2, v3
	s_nop 1
	v_addc_co_u32_e32 v22, vcc, 0, v22, vcc
	v_cmp_ge_i32_e32 vcc, v2, v3
	s_nop 1
	v_addc_co_u32_e32 v24, vcc, 0, v24, vcc
	v_cmp_ge_i32_e32 vcc, v22, v36
	v_cmp_ge_i32_e64 s[4:5], v24, v21
	s_or_b64 s[4:5], vcc, s[4:5]
	s_and_b64 s[4:5], exec, s[4:5]
	s_or_b64 s[48:49], s[4:5], s[48:49]
	s_andn2_b64 exec, exec, s[48:49]
	s_cbranch_execz .LBB61_14
.LBB61_12:                              ;   Parent Loop BB61_5 Depth=1
                                        ;     Parent Loop BB61_9 Depth=2
                                        ; =>    This Inner Loop Header: Depth=3
	v_ashrrev_i32_e32 v23, 31, v22
	v_ashrrev_i32_e32 v25, 31, v24
	v_lshl_add_u64 v[2:3], v[22:23], 2, s[20:21]
	v_lshl_add_u64 v[4:5], v[24:25], 2, s[10:11]
	global_load_dword v2, v[2:3], off
	s_nop 0
	global_load_dword v3, v[4:5], off
	s_waitcnt vmcnt(0)
	v_cmp_eq_u32_e32 vcc, v2, v3
	s_and_saveexec_b64 s[4:5], vcc
	s_cbranch_execz .LBB61_11
; %bb.13:                               ;   in Loop: Header=BB61_12 Depth=3
	v_lshl_add_u64 v[4:5], v[24:25], 2, s[12:13]
	global_load_dword v4, v[4:5], off
	v_lshl_add_u64 v[40:41], v[22:23], 4, s[14:15]
	global_load_dwordx4 v[40:43], v[40:41], off
	s_waitcnt vmcnt(1)
	v_ashrrev_i32_e32 v5, 31, v4
	v_lshl_add_u64 v[4:5], v[4:5], 4, s[14:15]
	global_load_dwordx4 v[44:47], v[4:5], off
	s_waitcnt vmcnt(0)
	v_fmac_f64_e32 v[26:27], v[40:41], v[44:45]
	v_fmac_f64_e32 v[28:29], v[42:43], v[44:45]
	v_fma_f64 v[26:27], -v[42:43], v[46:47], v[26:27]
	v_fmac_f64_e32 v[28:29], v[40:41], v[46:47]
	s_branch .LBB61_11
.LBB61_14:                              ;   in Loop: Header=BB61_9 Depth=2
	s_or_b64 exec, exec, s[48:49]
.LBB61_15:                              ;   in Loop: Header=BB61_9 Depth=2
	s_or_b64 exec, exec, s[46:47]
	s_waitcnt vmcnt(1)
	v_add_f64 v[2:3], v[10:11], -v[26:27]
	v_add_f64 v[4:5], v[12:13], -v[28:29]
	v_cmp_gt_i32_e32 vcc, v16, v20
	s_and_saveexec_b64 s[4:5], vcc
	s_cbranch_execz .LBB61_17
; %bb.16:                               ;   in Loop: Header=BB61_9 Depth=2
	s_waitcnt vmcnt(0)
	v_mul_f64 v[40:41], v[8:9], v[8:9]
	v_fmac_f64_e32 v[40:41], v[6:7], v[6:7]
	v_div_scale_f64 v[42:43], s[46:47], v[40:41], v[40:41], 1.0
	v_rcp_f64_e32 v[44:45], v[42:43]
	v_div_scale_f64 v[46:47], vcc, 1.0, v[40:41], 1.0
	v_fma_f64 v[48:49], -v[42:43], v[44:45], 1.0
	v_fmac_f64_e32 v[44:45], v[44:45], v[48:49]
	v_fma_f64 v[48:49], -v[42:43], v[44:45], 1.0
	v_fmac_f64_e32 v[44:45], v[44:45], v[48:49]
	v_mul_f64 v[48:49], v[46:47], v[44:45]
	v_fma_f64 v[42:43], -v[42:43], v[48:49], v[46:47]
	v_div_fmas_f64 v[42:43], v[42:43], v[44:45], v[48:49]
	v_div_fixup_f64 v[40:41], v[42:43], v[40:41], 1.0
	v_mul_f64 v[42:43], v[8:9], v[4:5]
	v_fmac_f64_e32 v[42:43], v[2:3], v[6:7]
	v_mul_f64 v[2:3], v[8:9], -v[2:3]
	v_mul_f64 v[42:43], v[40:41], v[42:43]
	v_fmac_f64_e32 v[2:3], v[4:5], v[6:7]
	v_mul_f64 v[4:5], v[40:41], v[2:3]
	v_mov_b64_e32 v[2:3], v[42:43]
.LBB61_17:                              ;   in Loop: Header=BB61_9 Depth=2
	s_or_b64 exec, exec, s[4:5]
	v_add_f64 v[10:11], v[26:27], -v[10:11]
	v_add_f64 v[12:13], v[28:29], -v[12:13]
	v_cmp_lt_i32_e32 vcc, v24, v21
	s_and_saveexec_b64 s[4:5], vcc
	s_cbranch_execz .LBB61_25
; %bb.18:                               ;   in Loop: Header=BB61_9 Depth=2
	v_ashrrev_i32_e32 v25, 31, v24
	v_lshl_add_u64 v[26:27], v[24:25], 2, s[10:11]
	s_mov_b64 s[48:49], 0
                                        ; implicit-def: $sgpr46_sgpr47
                                        ; implicit-def: $sgpr52_sgpr53
                                        ; implicit-def: $sgpr50_sgpr51
	s_branch .LBB61_20
.LBB61_19:                              ;   in Loop: Header=BB61_20 Depth=3
	s_or_b64 exec, exec, s[54:55]
	s_and_b64 s[54:55], exec, s[52:53]
	s_or_b64 s[48:49], s[54:55], s[48:49]
	s_andn2_b64 s[46:47], s[46:47], exec
	s_and_b64 s[54:55], s[50:51], exec
	s_or_b64 s[46:47], s[46:47], s[54:55]
	s_andn2_b64 exec, exec, s[48:49]
	s_cbranch_execz .LBB61_22
.LBB61_20:                              ;   Parent Loop BB61_5 Depth=1
                                        ;     Parent Loop BB61_9 Depth=2
                                        ; =>    This Inner Loop Header: Depth=3
	global_load_dword v23, v[26:27], off
	v_mov_b64_e32 v[28:29], v[24:25]
	s_or_b64 s[50:51], s[50:51], exec
	s_or_b64 s[52:53], s[52:53], exec
                                        ; implicit-def: $vgpr24_vgpr25
	s_waitcnt vmcnt(0)
	v_subrev_u32_e32 v23, s56, v23
	v_cmp_ne_u32_e32 vcc, v23, v16
	s_and_saveexec_b64 s[54:55], vcc
	s_cbranch_execz .LBB61_19
; %bb.21:                               ;   in Loop: Header=BB61_20 Depth=3
	v_lshl_add_u64 v[24:25], v[28:29], 0, 1
	v_cmp_ge_i32_e32 vcc, v24, v21
	s_andn2_b64 s[52:53], s[52:53], exec
	s_and_b64 s[60:61], vcc, exec
	v_lshl_add_u64 v[26:27], v[26:27], 0, 4
	s_andn2_b64 s[50:51], s[50:51], exec
	s_or_b64 s[52:53], s[52:53], s[60:61]
	s_branch .LBB61_19
.LBB61_22:                              ;   in Loop: Header=BB61_9 Depth=2
	s_or_b64 exec, exec, s[48:49]
	s_and_saveexec_b64 s[48:49], s[46:47]
	s_xor_b64 s[46:47], exec, s[48:49]
	s_cbranch_execz .LBB61_24
; %bb.23:                               ;   in Loop: Header=BB61_9 Depth=2
	v_lshl_add_u64 v[24:25], v[28:29], 2, s[12:13]
	global_load_dword v24, v[24:25], off
	s_waitcnt vmcnt(0)
	v_ashrrev_i32_e32 v25, 31, v24
	v_lshl_add_u64 v[24:25], v[24:25], 4, s[14:15]
	global_load_dwordx4 v[24:27], v[24:25], off
	s_waitcnt vmcnt(0)
	v_add_f64 v[10:11], v[10:11], v[24:25]
	v_add_f64 v[12:13], v[12:13], v[26:27]
.LBB61_24:                              ;   in Loop: Header=BB61_9 Depth=2
	s_or_b64 exec, exec, s[46:47]
.LBB61_25:                              ;   in Loop: Header=BB61_9 Depth=2
	s_or_b64 exec, exec, s[4:5]
	v_cmp_lt_i32_e32 vcc, v22, v36
	s_and_saveexec_b64 s[4:5], vcc
	s_cbranch_execz .LBB61_33
; %bb.26:                               ;   in Loop: Header=BB61_9 Depth=2
	v_ashrrev_i32_e32 v23, 31, v22
	v_lshl_add_u64 v[24:25], v[22:23], 2, s[20:21]
	s_mov_b64 s[48:49], 0
                                        ; implicit-def: $sgpr46_sgpr47
                                        ; implicit-def: $sgpr52_sgpr53
                                        ; implicit-def: $sgpr50_sgpr51
	s_branch .LBB61_28
.LBB61_27:                              ;   in Loop: Header=BB61_28 Depth=3
	s_or_b64 exec, exec, s[54:55]
	s_and_b64 s[54:55], exec, s[52:53]
	s_or_b64 s[48:49], s[54:55], s[48:49]
	s_andn2_b64 s[46:47], s[46:47], exec
	s_and_b64 s[54:55], s[50:51], exec
	s_or_b64 s[46:47], s[46:47], s[54:55]
	s_andn2_b64 exec, exec, s[48:49]
	s_cbranch_execz .LBB61_30
.LBB61_28:                              ;   Parent Loop BB61_5 Depth=1
                                        ;     Parent Loop BB61_9 Depth=2
                                        ; =>    This Inner Loop Header: Depth=3
	global_load_dword v21, v[24:25], off
	v_mov_b64_e32 v[26:27], v[22:23]
	s_or_b64 s[50:51], s[50:51], exec
	s_or_b64 s[52:53], s[52:53], exec
                                        ; implicit-def: $vgpr22_vgpr23
	s_waitcnt vmcnt(0)
	v_cmp_ne_u32_e32 vcc, v21, v38
	s_and_saveexec_b64 s[54:55], vcc
	s_cbranch_execz .LBB61_27
; %bb.29:                               ;   in Loop: Header=BB61_28 Depth=3
	v_lshl_add_u64 v[22:23], v[26:27], 0, 1
	v_cmp_ge_i32_e32 vcc, v22, v36
	s_andn2_b64 s[52:53], s[52:53], exec
	s_and_b64 s[60:61], vcc, exec
	v_lshl_add_u64 v[24:25], v[24:25], 0, 4
	s_andn2_b64 s[50:51], s[50:51], exec
	s_or_b64 s[52:53], s[52:53], s[60:61]
	s_branch .LBB61_27
.LBB61_30:                              ;   in Loop: Header=BB61_9 Depth=2
	s_or_b64 exec, exec, s[48:49]
	s_and_saveexec_b64 s[48:49], s[46:47]
	s_xor_b64 s[46:47], exec, s[48:49]
	s_cbranch_execz .LBB61_32
; %bb.31:                               ;   in Loop: Header=BB61_9 Depth=2
	v_lshl_add_u64 v[22:23], v[26:27], 4, s[14:15]
	global_load_dwordx4 v[22:25], v[22:23], off
	s_waitcnt vmcnt(0)
	v_fmac_f64_e32 v[10:11], v[22:23], v[6:7]
	v_fmac_f64_e32 v[12:13], v[24:25], v[6:7]
	v_fma_f64 v[10:11], -v[24:25], v[8:9], v[10:11]
	v_fmac_f64_e32 v[12:13], v[22:23], v[8:9]
.LBB61_32:                              ;   in Loop: Header=BB61_9 Depth=2
	s_or_b64 exec, exec, s[46:47]
.LBB61_33:                              ;   in Loop: Header=BB61_9 Depth=2
	s_or_b64 exec, exec, s[4:5]
	s_waitcnt vmcnt(0)
	v_add_f64 v[6:7], v[6:7], v[10:11]
	v_add_f64 v[8:9], v[8:9], v[12:13]
	v_cmp_eq_u32_e32 vcc, v16, v20
	s_nop 1
	v_cndmask_b32_e32 v12, v12, v8, vcc
	v_cndmask_b32_e32 v8, v10, v6, vcc
	;; [unrolled: 1-line block ×4, first 2 shown]
	v_xor_b32_e32 v9, 0x80000000, v6
	v_cmp_lt_f64_e32 vcc, s[34:35], v[8:9]
	v_mov_b32_e32 v10, v12
	s_nop 0
	v_cndmask_b32_e32 v9, v6, v9, vcc
	v_xor_b32_e32 v6, 0x80000000, v13
	v_cmp_gt_f64_e32 vcc, 0, v[12:13]
	s_nop 1
	v_cndmask_b32_e32 v11, v13, v6, vcc
	v_cmp_ngt_f64_e32 vcc, v[8:9], v[10:11]
                                        ; implicit-def: $vgpr6_vgpr7
	s_and_saveexec_b64 s[4:5], vcc
	s_xor_b64 s[4:5], exec, s[4:5]
	s_cbranch_execz .LBB61_37
; %bb.34:                               ;   in Loop: Header=BB61_9 Depth=2
	v_mov_b64_e32 v[6:7], 0
	v_cmp_neq_f64_e32 vcc, 0, v[12:13]
	s_and_saveexec_b64 s[46:47], vcc
	s_cbranch_execz .LBB61_36
; %bb.35:                               ;   in Loop: Header=BB61_9 Depth=2
	v_div_scale_f64 v[6:7], s[48:49], v[10:11], v[10:11], v[8:9]
	v_rcp_f64_e32 v[12:13], v[6:7]
	v_div_scale_f64 v[20:21], vcc, v[8:9], v[10:11], v[8:9]
	v_fma_f64 v[22:23], -v[6:7], v[12:13], 1.0
	v_fmac_f64_e32 v[12:13], v[12:13], v[22:23]
	v_fma_f64 v[22:23], -v[6:7], v[12:13], 1.0
	v_fmac_f64_e32 v[12:13], v[12:13], v[22:23]
	v_mul_f64 v[22:23], v[20:21], v[12:13]
	v_fma_f64 v[6:7], -v[6:7], v[22:23], v[20:21]
	v_div_fmas_f64 v[6:7], v[6:7], v[12:13], v[22:23]
	v_div_fixup_f64 v[6:7], v[6:7], v[10:11], v[8:9]
	v_fma_f64 v[6:7], v[6:7], v[6:7], 1.0
	v_cmp_gt_f64_e32 vcc, s[36:37], v[6:7]
	s_nop 1
	v_cndmask_b32_e32 v8, 0, v34, vcc
	v_ldexp_f64 v[6:7], v[6:7], v8
	v_rsq_f64_e32 v[8:9], v[6:7]
	s_nop 0
	v_mul_f64 v[12:13], v[6:7], v[8:9]
	v_mul_f64 v[8:9], v[8:9], 0.5
	v_fma_f64 v[20:21], -v[8:9], v[12:13], 0.5
	v_fmac_f64_e32 v[12:13], v[12:13], v[20:21]
	v_fma_f64 v[22:23], -v[12:13], v[12:13], v[6:7]
	v_fmac_f64_e32 v[8:9], v[8:9], v[20:21]
	v_fmac_f64_e32 v[12:13], v[22:23], v[8:9]
	v_fma_f64 v[20:21], -v[12:13], v[12:13], v[6:7]
	v_fmac_f64_e32 v[12:13], v[20:21], v[8:9]
	v_cndmask_b32_e32 v8, 0, v35, vcc
	v_ldexp_f64 v[8:9], v[12:13], v8
	v_cmp_class_f64_e32 vcc, v[6:7], v33
	s_nop 1
	v_cndmask_b32_e32 v7, v9, v7, vcc
	v_cndmask_b32_e32 v6, v8, v6, vcc
	v_mul_f64 v[6:7], v[10:11], v[6:7]
.LBB61_36:                              ;   in Loop: Header=BB61_9 Depth=2
	s_or_b64 exec, exec, s[46:47]
                                        ; implicit-def: $vgpr8_vgpr9
                                        ; implicit-def: $vgpr10_vgpr11
.LBB61_37:                              ;   in Loop: Header=BB61_9 Depth=2
	s_andn2_saveexec_b64 s[4:5], s[4:5]
	s_cbranch_execz .LBB61_39
; %bb.38:                               ;   in Loop: Header=BB61_9 Depth=2
	v_div_scale_f64 v[6:7], s[46:47], v[8:9], v[8:9], v[10:11]
	v_rcp_f64_e32 v[12:13], v[6:7]
	v_div_scale_f64 v[20:21], vcc, v[10:11], v[8:9], v[10:11]
	v_fma_f64 v[22:23], -v[6:7], v[12:13], 1.0
	v_fmac_f64_e32 v[12:13], v[12:13], v[22:23]
	v_fma_f64 v[22:23], -v[6:7], v[12:13], 1.0
	v_fmac_f64_e32 v[12:13], v[12:13], v[22:23]
	v_mul_f64 v[22:23], v[20:21], v[12:13]
	v_fma_f64 v[6:7], -v[6:7], v[22:23], v[20:21]
	v_div_fmas_f64 v[6:7], v[6:7], v[12:13], v[22:23]
	v_div_fixup_f64 v[6:7], v[6:7], v[8:9], v[10:11]
	v_fma_f64 v[6:7], v[6:7], v[6:7], 1.0
	v_cmp_gt_f64_e32 vcc, s[36:37], v[6:7]
	s_nop 1
	v_cndmask_b32_e32 v10, 0, v34, vcc
	v_ldexp_f64 v[6:7], v[6:7], v10
	v_rsq_f64_e32 v[10:11], v[6:7]
	s_nop 0
	v_mul_f64 v[12:13], v[6:7], v[10:11]
	v_mul_f64 v[10:11], v[10:11], 0.5
	v_fma_f64 v[20:21], -v[10:11], v[12:13], 0.5
	v_fmac_f64_e32 v[12:13], v[12:13], v[20:21]
	v_fma_f64 v[22:23], -v[12:13], v[12:13], v[6:7]
	v_fmac_f64_e32 v[10:11], v[10:11], v[20:21]
	v_fmac_f64_e32 v[12:13], v[22:23], v[10:11]
	v_fma_f64 v[20:21], -v[12:13], v[12:13], v[6:7]
	v_fmac_f64_e32 v[12:13], v[20:21], v[10:11]
	v_cndmask_b32_e32 v10, 0, v35, vcc
	v_ldexp_f64 v[10:11], v[12:13], v10
	v_cmp_class_f64_e32 vcc, v[6:7], v33
	s_nop 1
	v_cndmask_b32_e32 v7, v11, v7, vcc
	v_cndmask_b32_e32 v6, v10, v6, vcc
	v_mul_f64 v[6:7], v[8:9], v[6:7]
.LBB61_39:                              ;   in Loop: Header=BB61_9 Depth=2
	s_or_b64 exec, exec, s[4:5]
	v_xor_b32_e32 v8, 0x80000000, v3
	v_cmp_gt_f64_e32 vcc, 0, v[2:3]
	v_xor_b32_e32 v10, 0x80000000, v5
                                        ; implicit-def: $vgpr12_vgpr13
	s_nop 0
	v_cndmask_b32_e32 v9, v3, v8, vcc
	v_cmp_gt_f64_e32 vcc, 0, v[4:5]
	v_mov_b32_e32 v8, v2
	s_nop 0
	v_cndmask_b32_e32 v11, v5, v10, vcc
	v_mov_b32_e32 v10, v4
	v_cmp_ngt_f64_e32 vcc, v[8:9], v[10:11]
	s_and_saveexec_b64 s[4:5], vcc
	s_xor_b64 s[4:5], exec, s[4:5]
	s_cbranch_execnz .LBB61_42
; %bb.40:                               ;   in Loop: Header=BB61_9 Depth=2
	s_andn2_saveexec_b64 s[4:5], s[4:5]
	s_cbranch_execnz .LBB61_45
.LBB61_41:                              ;   in Loop: Header=BB61_9 Depth=2
	s_or_b64 exec, exec, s[4:5]
	v_cmp_class_f64_e64 s[46:47], v[12:13], s58
	s_and_saveexec_b64 s[4:5], s[46:47]
	s_cbranch_execz .LBB61_8
	s_branch .LBB61_46
.LBB61_42:                              ;   in Loop: Header=BB61_9 Depth=2
	v_mov_b64_e32 v[12:13], 0
	v_cmp_neq_f64_e32 vcc, 0, v[4:5]
	s_and_saveexec_b64 s[46:47], vcc
	s_cbranch_execz .LBB61_44
; %bb.43:                               ;   in Loop: Header=BB61_9 Depth=2
	v_div_scale_f64 v[12:13], s[48:49], v[10:11], v[10:11], v[8:9]
	v_rcp_f64_e32 v[20:21], v[12:13]
	v_div_scale_f64 v[22:23], vcc, v[8:9], v[10:11], v[8:9]
	v_fma_f64 v[24:25], -v[12:13], v[20:21], 1.0
	v_fmac_f64_e32 v[20:21], v[20:21], v[24:25]
	v_fma_f64 v[24:25], -v[12:13], v[20:21], 1.0
	v_fmac_f64_e32 v[20:21], v[20:21], v[24:25]
	v_mul_f64 v[24:25], v[22:23], v[20:21]
	v_fma_f64 v[12:13], -v[12:13], v[24:25], v[22:23]
	v_div_fmas_f64 v[12:13], v[12:13], v[20:21], v[24:25]
	v_div_fixup_f64 v[8:9], v[12:13], v[10:11], v[8:9]
	v_fma_f64 v[8:9], v[8:9], v[8:9], 1.0
	v_cmp_gt_f64_e32 vcc, s[36:37], v[8:9]
	s_nop 1
	v_cndmask_b32_e32 v12, 0, v34, vcc
	v_ldexp_f64 v[8:9], v[8:9], v12
	v_rsq_f64_e32 v[12:13], v[8:9]
	s_nop 0
	v_mul_f64 v[20:21], v[8:9], v[12:13]
	v_mul_f64 v[12:13], v[12:13], 0.5
	v_fma_f64 v[22:23], -v[12:13], v[20:21], 0.5
	v_fmac_f64_e32 v[20:21], v[20:21], v[22:23]
	v_fma_f64 v[24:25], -v[20:21], v[20:21], v[8:9]
	v_fmac_f64_e32 v[12:13], v[12:13], v[22:23]
	v_fmac_f64_e32 v[20:21], v[24:25], v[12:13]
	v_fma_f64 v[22:23], -v[20:21], v[20:21], v[8:9]
	v_fmac_f64_e32 v[20:21], v[22:23], v[12:13]
	v_cndmask_b32_e32 v12, 0, v35, vcc
	v_ldexp_f64 v[12:13], v[20:21], v12
	v_cmp_class_f64_e32 vcc, v[8:9], v33
	s_nop 1
	v_cndmask_b32_e32 v9, v13, v9, vcc
	v_cndmask_b32_e32 v8, v12, v8, vcc
	v_mul_f64 v[12:13], v[10:11], v[8:9]
.LBB61_44:                              ;   in Loop: Header=BB61_9 Depth=2
	s_or_b64 exec, exec, s[46:47]
                                        ; implicit-def: $vgpr8_vgpr9
                                        ; implicit-def: $vgpr10_vgpr11
	s_andn2_saveexec_b64 s[4:5], s[4:5]
	s_cbranch_execz .LBB61_41
.LBB61_45:                              ;   in Loop: Header=BB61_9 Depth=2
	v_div_scale_f64 v[12:13], s[46:47], v[8:9], v[8:9], v[10:11]
	v_rcp_f64_e32 v[20:21], v[12:13]
	v_div_scale_f64 v[22:23], vcc, v[10:11], v[8:9], v[10:11]
	v_fma_f64 v[24:25], -v[12:13], v[20:21], 1.0
	v_fmac_f64_e32 v[20:21], v[20:21], v[24:25]
	v_fma_f64 v[24:25], -v[12:13], v[20:21], 1.0
	v_fmac_f64_e32 v[20:21], v[20:21], v[24:25]
	v_mul_f64 v[24:25], v[22:23], v[20:21]
	v_fma_f64 v[12:13], -v[12:13], v[24:25], v[22:23]
	v_div_fmas_f64 v[12:13], v[12:13], v[20:21], v[24:25]
	v_div_fixup_f64 v[10:11], v[12:13], v[8:9], v[10:11]
	v_fma_f64 v[10:11], v[10:11], v[10:11], 1.0
	v_cmp_gt_f64_e32 vcc, s[36:37], v[10:11]
	s_nop 1
	v_cndmask_b32_e32 v12, 0, v34, vcc
	v_ldexp_f64 v[10:11], v[10:11], v12
	v_rsq_f64_e32 v[12:13], v[10:11]
	s_nop 0
	v_mul_f64 v[20:21], v[10:11], v[12:13]
	v_mul_f64 v[12:13], v[12:13], 0.5
	v_fma_f64 v[22:23], -v[12:13], v[20:21], 0.5
	v_fmac_f64_e32 v[20:21], v[20:21], v[22:23]
	v_fma_f64 v[24:25], -v[20:21], v[20:21], v[10:11]
	v_fmac_f64_e32 v[12:13], v[12:13], v[22:23]
	v_fmac_f64_e32 v[20:21], v[24:25], v[12:13]
	v_fma_f64 v[22:23], -v[20:21], v[20:21], v[10:11]
	v_fmac_f64_e32 v[20:21], v[22:23], v[12:13]
	v_cndmask_b32_e32 v12, 0, v35, vcc
	v_ldexp_f64 v[12:13], v[20:21], v12
	v_cmp_class_f64_e32 vcc, v[10:11], v33
	s_nop 1
	v_cndmask_b32_e32 v11, v13, v11, vcc
	v_cndmask_b32_e32 v10, v12, v10, vcc
	v_mul_f64 v[12:13], v[8:9], v[10:11]
	s_or_b64 exec, exec, s[4:5]
	v_cmp_class_f64_e64 s[46:47], v[12:13], s58
	s_and_saveexec_b64 s[4:5], s[46:47]
	s_cbranch_execz .LBB61_8
.LBB61_46:                              ;   in Loop: Header=BB61_9 Depth=2
	v_lshl_add_u64 v[8:9], v[18:19], 4, s[14:15]
	global_store_dwordx4 v[8:9], v[2:5], off
	s_branch .LBB61_8
.LBB61_47:
	s_or_b64 exec, exec, s[6:7]
	v_mov_b32_dpp v2, v14 row_shr:1 row_mask:0xf bank_mask:0xf
	v_mov_b32_dpp v3, v15 row_shr:1 row_mask:0xf bank_mask:0xf
	v_cmp_lt_f64_e32 vcc, v[14:15], v[2:3]
	s_nop 1
	v_cndmask_b32_e32 v3, v15, v3, vcc
	v_cndmask_b32_e32 v2, v14, v2, vcc
	s_nop 0
	v_mov_b32_dpp v5, v3 row_shr:2 row_mask:0xf bank_mask:0xf
	v_mov_b32_dpp v4, v2 row_shr:2 row_mask:0xf bank_mask:0xf
	v_cmp_lt_f64_e32 vcc, v[2:3], v[4:5]
	s_nop 1
	v_cndmask_b32_e32 v3, v3, v5, vcc
	v_cndmask_b32_e32 v2, v2, v4, vcc
	s_nop 0
	v_mov_b32_dpp v5, v3 row_shr:4 row_mask:0xf bank_mask:0xe
	v_mov_b32_dpp v4, v2 row_shr:4 row_mask:0xf bank_mask:0xe
	v_cmp_lt_f64_e32 vcc, v[2:3], v[4:5]
	s_nop 1
	v_cndmask_b32_e32 v3, v3, v5, vcc
	v_cndmask_b32_e32 v2, v2, v4, vcc
	s_nop 0
	v_mov_b32_dpp v5, v3 row_shr:8 row_mask:0xf bank_mask:0xc
	v_mov_b32_dpp v4, v2 row_shr:8 row_mask:0xf bank_mask:0xc
	v_cmp_lt_f64_e32 vcc, v[2:3], v[4:5]
	s_nop 1
	v_cndmask_b32_e32 v3, v3, v5, vcc
	v_cndmask_b32_e32 v2, v2, v4, vcc
	v_cmp_eq_u32_e32 vcc, 31, v30
	v_mov_b32_dpp v6, v3 row_bcast:15 row_mask:0xa bank_mask:0xf
	v_mov_b32_dpp v4, v2 row_bcast:15 row_mask:0xa bank_mask:0xf
	s_and_saveexec_b64 s[2:3], vcc
	s_cbranch_execz .LBB61_49
; %bb.48:
	v_mov_b32_e32 v5, v6
	v_cmp_lt_f64_e32 vcc, v[2:3], v[4:5]
	v_lshlrev_b32_e32 v1, 3, v1
	s_nop 0
	v_cndmask_b32_e32 v3, v3, v6, vcc
	v_cndmask_b32_e32 v2, v2, v4, vcc
	ds_write_b64 v1, v[2:3]
.LBB61_49:
	s_or_b64 exec, exec, s[2:3]
	v_cmp_gt_u32_e32 vcc, 16, v0
	v_lshlrev_b32_e32 v1, 3, v0
	s_waitcnt lgkmcnt(0)
	s_barrier
	s_and_saveexec_b64 s[2:3], vcc
	s_cbranch_execz .LBB61_51
; %bb.50:
	ds_read2_b64 v[2:5], v1 offset1:16
	s_waitcnt lgkmcnt(0)
	v_cmp_lt_f64_e32 vcc, v[2:3], v[4:5]
	s_nop 1
	v_cndmask_b32_e32 v3, v3, v5, vcc
	v_cndmask_b32_e32 v2, v2, v4, vcc
	ds_write_b64 v1, v[2:3]
.LBB61_51:
	s_or_b64 exec, exec, s[2:3]
	v_cmp_gt_u32_e32 vcc, 8, v0
	s_waitcnt lgkmcnt(0)
	s_barrier
	s_and_saveexec_b64 s[2:3], vcc
	s_cbranch_execz .LBB61_53
; %bb.52:
	ds_read2_b64 v[2:5], v1 offset1:8
	s_waitcnt lgkmcnt(0)
	v_cmp_lt_f64_e32 vcc, v[2:3], v[4:5]
	s_nop 1
	v_cndmask_b32_e32 v3, v3, v5, vcc
	v_cndmask_b32_e32 v2, v2, v4, vcc
	ds_write_b64 v1, v[2:3]
.LBB61_53:
	s_or_b64 exec, exec, s[2:3]
	v_cmp_gt_u32_e32 vcc, 4, v0
	;; [unrolled: 15-line block ×3, first 2 shown]
	s_waitcnt lgkmcnt(0)
	s_barrier
	s_and_saveexec_b64 s[2:3], vcc
	s_cbranch_execz .LBB61_57
; %bb.56:
	ds_read2_b64 v[2:5], v1 offset1:2
	s_waitcnt lgkmcnt(0)
	v_cmp_lt_f64_e32 vcc, v[2:3], v[4:5]
	s_nop 1
	v_cndmask_b32_e32 v3, v3, v5, vcc
	v_cndmask_b32_e32 v2, v2, v4, vcc
	ds_write_b64 v1, v[2:3]
.LBB61_57:
	s_or_b64 exec, exec, s[2:3]
	v_cmp_eq_u32_e32 vcc, 0, v0
	s_waitcnt lgkmcnt(0)
	s_barrier
	s_and_saveexec_b64 s[4:5], vcc
	s_cbranch_execz .LBB61_59
; %bb.58:
	v_mov_b32_e32 v4, 0
	ds_read_b128 v[0:3], v4
	s_waitcnt lgkmcnt(0)
	v_cmp_lt_f64_e64 s[2:3], v[0:1], v[2:3]
	s_nop 1
	v_cndmask_b32_e64 v1, v1, v3, s[2:3]
	v_cndmask_b32_e64 v0, v0, v2, s[2:3]
	ds_write_b64 v4, v[0:1]
.LBB61_59:
	s_or_b64 exec, exec, s[4:5]
	s_waitcnt lgkmcnt(0)
	s_barrier
	s_and_saveexec_b64 s[2:3], vcc
	s_cbranch_execz .LBB61_62
; %bb.60:
	v_mbcnt_lo_u32_b32 v0, exec_lo, 0
	v_mbcnt_hi_u32_b32 v0, exec_hi, v0
	v_cmp_eq_u32_e32 vcc, 0, v0
	s_and_b64 exec, exec, vcc
	s_cbranch_execz .LBB61_62
; %bb.61:
	s_load_dwordx4 s[0:3], s[0:1], 0x70
	v_mov_b32_e32 v10, 0
	ds_read_b64 v[0:1], v10
	s_waitcnt lgkmcnt(0)
	s_load_dwordx2 s[2:3], s[2:3], 0x0
	s_waitcnt lgkmcnt(0)
	v_div_scale_f64 v[2:3], s[4:5], s[2:3], s[2:3], v[0:1]
	v_rcp_f64_e32 v[4:5], v[2:3]
	v_div_scale_f64 v[6:7], vcc, v[0:1], s[2:3], v[0:1]
	v_fma_f64 v[8:9], -v[2:3], v[4:5], 1.0
	v_fmac_f64_e32 v[4:5], v[4:5], v[8:9]
	v_fma_f64 v[8:9], -v[2:3], v[4:5], 1.0
	v_fmac_f64_e32 v[4:5], v[4:5], v[8:9]
	v_mul_f64 v[8:9], v[6:7], v[4:5]
	v_fma_f64 v[2:3], -v[2:3], v[8:9], v[6:7]
	v_div_fmas_f64 v[2:3], v[2:3], v[4:5], v[8:9]
	v_div_fixup_f64 v[0:1], v[2:3], s[2:3], v[0:1]
	global_atomic_max_f64 v10, v[0:1], s[0:1]
.LBB61_62:
	s_endpgm
	.section	.rodata,"a",@progbits
	.p2align	6, 0x0
	.amdhsa_kernel _ZN9rocsparseL16kernel_calculateILi1024ELi32ELb1E21rocsparse_complex_numIdEiiEEvT4_T3_PKS4_S6_PKS3_PKT2_21rocsparse_index_base_S6_S6_S8_S6_S6_S8_S6_PS9_PNS_15floating_traitsIS9_E6data_tEPKSG_
		.amdhsa_group_segment_fixed_size 256
		.amdhsa_private_segment_fixed_size 0
		.amdhsa_kernarg_size 128
		.amdhsa_user_sgpr_count 2
		.amdhsa_user_sgpr_dispatch_ptr 0
		.amdhsa_user_sgpr_queue_ptr 0
		.amdhsa_user_sgpr_kernarg_segment_ptr 1
		.amdhsa_user_sgpr_dispatch_id 0
		.amdhsa_user_sgpr_kernarg_preload_length 0
		.amdhsa_user_sgpr_kernarg_preload_offset 0
		.amdhsa_user_sgpr_private_segment_size 0
		.amdhsa_uses_dynamic_stack 0
		.amdhsa_enable_private_segment 0
		.amdhsa_system_sgpr_workgroup_id_x 1
		.amdhsa_system_sgpr_workgroup_id_y 0
		.amdhsa_system_sgpr_workgroup_id_z 0
		.amdhsa_system_sgpr_workgroup_info 0
		.amdhsa_system_vgpr_workitem_id 0
		.amdhsa_next_free_vgpr 50
		.amdhsa_next_free_sgpr 62
		.amdhsa_accum_offset 52
		.amdhsa_reserve_vcc 1
		.amdhsa_float_round_mode_32 0
		.amdhsa_float_round_mode_16_64 0
		.amdhsa_float_denorm_mode_32 3
		.amdhsa_float_denorm_mode_16_64 3
		.amdhsa_dx10_clamp 1
		.amdhsa_ieee_mode 1
		.amdhsa_fp16_overflow 0
		.amdhsa_tg_split 0
		.amdhsa_exception_fp_ieee_invalid_op 0
		.amdhsa_exception_fp_denorm_src 0
		.amdhsa_exception_fp_ieee_div_zero 0
		.amdhsa_exception_fp_ieee_overflow 0
		.amdhsa_exception_fp_ieee_underflow 0
		.amdhsa_exception_fp_ieee_inexact 0
		.amdhsa_exception_int_div_zero 0
	.end_amdhsa_kernel
	.section	.text._ZN9rocsparseL16kernel_calculateILi1024ELi32ELb1E21rocsparse_complex_numIdEiiEEvT4_T3_PKS4_S6_PKS3_PKT2_21rocsparse_index_base_S6_S6_S8_S6_S6_S8_S6_PS9_PNS_15floating_traitsIS9_E6data_tEPKSG_,"axG",@progbits,_ZN9rocsparseL16kernel_calculateILi1024ELi32ELb1E21rocsparse_complex_numIdEiiEEvT4_T3_PKS4_S6_PKS3_PKT2_21rocsparse_index_base_S6_S6_S8_S6_S6_S8_S6_PS9_PNS_15floating_traitsIS9_E6data_tEPKSG_,comdat
.Lfunc_end61:
	.size	_ZN9rocsparseL16kernel_calculateILi1024ELi32ELb1E21rocsparse_complex_numIdEiiEEvT4_T3_PKS4_S6_PKS3_PKT2_21rocsparse_index_base_S6_S6_S8_S6_S6_S8_S6_PS9_PNS_15floating_traitsIS9_E6data_tEPKSG_, .Lfunc_end61-_ZN9rocsparseL16kernel_calculateILi1024ELi32ELb1E21rocsparse_complex_numIdEiiEEvT4_T3_PKS4_S6_PKS3_PKT2_21rocsparse_index_base_S6_S6_S8_S6_S6_S8_S6_PS9_PNS_15floating_traitsIS9_E6data_tEPKSG_
                                        ; -- End function
	.set _ZN9rocsparseL16kernel_calculateILi1024ELi32ELb1E21rocsparse_complex_numIdEiiEEvT4_T3_PKS4_S6_PKS3_PKT2_21rocsparse_index_base_S6_S6_S8_S6_S6_S8_S6_PS9_PNS_15floating_traitsIS9_E6data_tEPKSG_.num_vgpr, 50
	.set _ZN9rocsparseL16kernel_calculateILi1024ELi32ELb1E21rocsparse_complex_numIdEiiEEvT4_T3_PKS4_S6_PKS3_PKT2_21rocsparse_index_base_S6_S6_S8_S6_S6_S8_S6_PS9_PNS_15floating_traitsIS9_E6data_tEPKSG_.num_agpr, 0
	.set _ZN9rocsparseL16kernel_calculateILi1024ELi32ELb1E21rocsparse_complex_numIdEiiEEvT4_T3_PKS4_S6_PKS3_PKT2_21rocsparse_index_base_S6_S6_S8_S6_S6_S8_S6_PS9_PNS_15floating_traitsIS9_E6data_tEPKSG_.numbered_sgpr, 62
	.set _ZN9rocsparseL16kernel_calculateILi1024ELi32ELb1E21rocsparse_complex_numIdEiiEEvT4_T3_PKS4_S6_PKS3_PKT2_21rocsparse_index_base_S6_S6_S8_S6_S6_S8_S6_PS9_PNS_15floating_traitsIS9_E6data_tEPKSG_.num_named_barrier, 0
	.set _ZN9rocsparseL16kernel_calculateILi1024ELi32ELb1E21rocsparse_complex_numIdEiiEEvT4_T3_PKS4_S6_PKS3_PKT2_21rocsparse_index_base_S6_S6_S8_S6_S6_S8_S6_PS9_PNS_15floating_traitsIS9_E6data_tEPKSG_.private_seg_size, 0
	.set _ZN9rocsparseL16kernel_calculateILi1024ELi32ELb1E21rocsparse_complex_numIdEiiEEvT4_T3_PKS4_S6_PKS3_PKT2_21rocsparse_index_base_S6_S6_S8_S6_S6_S8_S6_PS9_PNS_15floating_traitsIS9_E6data_tEPKSG_.uses_vcc, 1
	.set _ZN9rocsparseL16kernel_calculateILi1024ELi32ELb1E21rocsparse_complex_numIdEiiEEvT4_T3_PKS4_S6_PKS3_PKT2_21rocsparse_index_base_S6_S6_S8_S6_S6_S8_S6_PS9_PNS_15floating_traitsIS9_E6data_tEPKSG_.uses_flat_scratch, 0
	.set _ZN9rocsparseL16kernel_calculateILi1024ELi32ELb1E21rocsparse_complex_numIdEiiEEvT4_T3_PKS4_S6_PKS3_PKT2_21rocsparse_index_base_S6_S6_S8_S6_S6_S8_S6_PS9_PNS_15floating_traitsIS9_E6data_tEPKSG_.has_dyn_sized_stack, 0
	.set _ZN9rocsparseL16kernel_calculateILi1024ELi32ELb1E21rocsparse_complex_numIdEiiEEvT4_T3_PKS4_S6_PKS3_PKT2_21rocsparse_index_base_S6_S6_S8_S6_S6_S8_S6_PS9_PNS_15floating_traitsIS9_E6data_tEPKSG_.has_recursion, 0
	.set _ZN9rocsparseL16kernel_calculateILi1024ELi32ELb1E21rocsparse_complex_numIdEiiEEvT4_T3_PKS4_S6_PKS3_PKT2_21rocsparse_index_base_S6_S6_S8_S6_S6_S8_S6_PS9_PNS_15floating_traitsIS9_E6data_tEPKSG_.has_indirect_call, 0
	.section	.AMDGPU.csdata,"",@progbits
; Kernel info:
; codeLenInByte = 3220
; TotalNumSgprs: 68
; NumVgprs: 50
; NumAgprs: 0
; TotalNumVgprs: 50
; ScratchSize: 0
; MemoryBound: 1
; FloatMode: 240
; IeeeMode: 1
; LDSByteSize: 256 bytes/workgroup (compile time only)
; SGPRBlocks: 8
; VGPRBlocks: 6
; NumSGPRsForWavesPerEU: 68
; NumVGPRsForWavesPerEU: 50
; AccumOffset: 52
; Occupancy: 8
; WaveLimiterHint : 1
; COMPUTE_PGM_RSRC2:SCRATCH_EN: 0
; COMPUTE_PGM_RSRC2:USER_SGPR: 2
; COMPUTE_PGM_RSRC2:TRAP_HANDLER: 0
; COMPUTE_PGM_RSRC2:TGID_X_EN: 1
; COMPUTE_PGM_RSRC2:TGID_Y_EN: 0
; COMPUTE_PGM_RSRC2:TGID_Z_EN: 0
; COMPUTE_PGM_RSRC2:TIDIG_COMP_CNT: 0
; COMPUTE_PGM_RSRC3_GFX90A:ACCUM_OFFSET: 12
; COMPUTE_PGM_RSRC3_GFX90A:TG_SPLIT: 0
	.section	.text._ZN9rocsparseL16kernel_calculateILi1024ELi64ELb1E21rocsparse_complex_numIdEiiEEvT4_T3_PKS4_S6_PKS3_PKT2_21rocsparse_index_base_S6_S6_S8_S6_S6_S8_S6_PS9_PNS_15floating_traitsIS9_E6data_tEPKSG_,"axG",@progbits,_ZN9rocsparseL16kernel_calculateILi1024ELi64ELb1E21rocsparse_complex_numIdEiiEEvT4_T3_PKS4_S6_PKS3_PKT2_21rocsparse_index_base_S6_S6_S8_S6_S6_S8_S6_PS9_PNS_15floating_traitsIS9_E6data_tEPKSG_,comdat
	.globl	_ZN9rocsparseL16kernel_calculateILi1024ELi64ELb1E21rocsparse_complex_numIdEiiEEvT4_T3_PKS4_S6_PKS3_PKT2_21rocsparse_index_base_S6_S6_S8_S6_S6_S8_S6_PS9_PNS_15floating_traitsIS9_E6data_tEPKSG_ ; -- Begin function _ZN9rocsparseL16kernel_calculateILi1024ELi64ELb1E21rocsparse_complex_numIdEiiEEvT4_T3_PKS4_S6_PKS3_PKT2_21rocsparse_index_base_S6_S6_S8_S6_S6_S8_S6_PS9_PNS_15floating_traitsIS9_E6data_tEPKSG_
	.p2align	8
	.type	_ZN9rocsparseL16kernel_calculateILi1024ELi64ELb1E21rocsparse_complex_numIdEiiEEvT4_T3_PKS4_S6_PKS3_PKT2_21rocsparse_index_base_S6_S6_S8_S6_S6_S8_S6_PS9_PNS_15floating_traitsIS9_E6data_tEPKSG_,@function
_ZN9rocsparseL16kernel_calculateILi1024ELi64ELb1E21rocsparse_complex_numIdEiiEEvT4_T3_PKS4_S6_PKS3_PKT2_21rocsparse_index_base_S6_S6_S8_S6_S6_S8_S6_PS9_PNS_15floating_traitsIS9_E6data_tEPKSG_: ; @_ZN9rocsparseL16kernel_calculateILi1024ELi64ELb1E21rocsparse_complex_numIdEiiEEvT4_T3_PKS4_S6_PKS3_PKT2_21rocsparse_index_base_S6_S6_S8_S6_S6_S8_S6_PS9_PNS_15floating_traitsIS9_E6data_tEPKSG_
; %bb.0:
	s_load_dword s33, s[0:1], 0x0
	v_lshrrev_b32_e32 v1, 6, v0
	v_lshl_or_b32 v31, s2, 10, v1
	v_and_b32_e32 v30, 63, v0
	v_mov_b64_e32 v[14:15], 0
	s_waitcnt lgkmcnt(0)
	v_cmp_gt_i32_e32 vcc, s33, v31
	s_and_saveexec_b64 s[6:7], vcc
	s_cbranch_execz .LBB62_47
; %bb.1:
	s_load_dword s56, s[0:1], 0x28
	s_load_dwordx8 s[8:15], s[0:1], 0x50
	s_load_dwordx8 s[16:23], s[0:1], 0x30
	;; [unrolled: 1-line block ×3, first 2 shown]
	s_mov_b32 s34, 0
	s_mov_b32 s36, 0
	;; [unrolled: 1-line block ×3, first 2 shown]
	v_mov_b64_e32 v[14:15], 0
	s_waitcnt lgkmcnt(0)
	v_subrev_u32_e32 v32, s56, v30
	s_mov_b32 s57, 0
	s_brev_b32 s35, 1
	s_brev_b32 s37, 8
	v_mov_b32_e32 v33, 0x260
	s_movk_i32 s58, 0x1f8
	s_mov_b32 s39, 0x7ff00000
	v_mov_b32_e32 v34, 0x100
	v_mov_b32_e32 v35, 0xffffff80
	s_branch .LBB62_5
.LBB62_2:                               ;   in Loop: Header=BB62_5 Depth=1
	s_or_b64 exec, exec, s[44:45]
.LBB62_3:                               ;   in Loop: Header=BB62_5 Depth=1
	s_or_b64 exec, exec, s[42:43]
.LBB62_4:                               ;   in Loop: Header=BB62_5 Depth=1
	s_or_b64 exec, exec, s[40:41]
	s_add_i32 s57, s57, 1
	s_cmp_lg_u32 s57, 64
	s_cbranch_scc0 .LBB62_47
.LBB62_5:                               ; =>This Loop Header: Depth=1
                                        ;     Child Loop BB62_9 Depth 2
                                        ;       Child Loop BB62_12 Depth 3
                                        ;       Child Loop BB62_20 Depth 3
	;; [unrolled: 1-line block ×3, first 2 shown]
	v_lshl_add_u32 v16, s57, 4, v31
	v_cmp_gt_i32_e32 vcc, s33, v16
	s_and_saveexec_b64 s[40:41], vcc
	s_cbranch_execz .LBB62_4
; %bb.6:                                ;   in Loop: Header=BB62_5 Depth=1
	v_ashrrev_i32_e32 v17, 31, v16
	v_lshlrev_b64 v[2:3], 2, v[16:17]
	v_lshl_add_u64 v[4:5], s[26:27], 0, v[2:3]
	global_load_dword v6, v[4:5], off
	v_lshl_add_u64 v[4:5], s[24:25], 0, v[2:3]
	global_load_dword v4, v[4:5], off
	s_waitcnt vmcnt(1)
	v_subrev_u32_e32 v17, s56, v6
	s_waitcnt vmcnt(0)
	v_add_u32_e32 v18, v32, v4
	v_cmp_lt_i32_e32 vcc, v18, v17
	s_and_saveexec_b64 s[42:43], vcc
	s_cbranch_execz .LBB62_3
; %bb.7:                                ;   in Loop: Header=BB62_5 Depth=1
	v_lshl_add_u64 v[4:5], s[18:19], 0, v[2:3]
	v_lshl_add_u64 v[2:3], s[16:17], 0, v[2:3]
	global_load_dword v4, v[4:5], off
	s_mov_b64 s[44:45], 0
	global_load_dword v2, v[2:3], off
	s_waitcnt vmcnt(1)
	v_subrev_u32_e32 v36, s56, v4
	s_waitcnt vmcnt(0)
	v_subrev_u32_e32 v37, s56, v2
	v_cmp_lt_i32_e64 s[2:3], v2, v4
	s_branch .LBB62_9
.LBB62_8:                               ;   in Loop: Header=BB62_9 Depth=2
	s_or_b64 exec, exec, s[4:5]
	v_cmp_nlg_f64_e64 s[4:5], |v[6:7]|, s[38:39]
	v_cmp_gt_f64_e32 vcc, v[14:15], v[6:7]
	v_add_u32_e32 v18, 64, v18
	s_or_b64 vcc, s[4:5], vcc
	v_cmp_ge_i32_e64 s[4:5], v18, v17
	v_cndmask_b32_e32 v15, v7, v15, vcc
	s_or_b64 s[44:45], s[4:5], s[44:45]
	v_cndmask_b32_e32 v14, v6, v14, vcc
	s_andn2_b64 exec, exec, s[44:45]
	s_cbranch_execz .LBB62_2
.LBB62_9:                               ;   Parent Loop BB62_5 Depth=1
                                        ; =>  This Loop Header: Depth=2
                                        ;       Child Loop BB62_12 Depth 3
                                        ;       Child Loop BB62_20 Depth 3
	;; [unrolled: 1-line block ×3, first 2 shown]
	v_ashrrev_i32_e32 v19, 31, v18
	v_lshl_add_u64 v[2:3], v[18:19], 2, s[28:29]
	global_load_dword v38, v[2:3], off
	v_mov_b64_e32 v[26:27], 0
	v_mov_b32_e32 v22, v37
	v_mov_b64_e32 v[28:29], 0
	s_waitcnt vmcnt(0)
	v_subrev_u32_e32 v20, s56, v38
	v_ashrrev_i32_e32 v21, 31, v20
	v_lshlrev_b64 v[2:3], 2, v[20:21]
	v_lshl_add_u64 v[4:5], s[18:19], 0, v[2:3]
	global_load_dword v6, v[4:5], off
	v_lshl_add_u64 v[4:5], s[8:9], 0, v[2:3]
	v_lshl_add_u64 v[2:3], s[22:23], 0, v[2:3]
	global_load_dword v4, v[4:5], off
	s_waitcnt vmcnt(0)
	v_subrev_u32_e32 v21, s56, v4
	global_load_dword v5, v[2:3], off
	v_lshl_add_u64 v[2:3], v[18:19], 4, s[30:31]
	global_load_dwordx4 v[10:13], v[2:3], off
	v_subrev_u32_e32 v2, s56, v6
	v_ashrrev_i32_e32 v3, 31, v2
	v_lshl_add_u64 v[2:3], v[2:3], 4, s[14:15]
	global_load_dwordx4 v[6:9], v[2:3], off
	s_waitcnt vmcnt(2)
	v_cmp_lt_i32_e32 vcc, v5, v4
	v_subrev_u32_e32 v24, s56, v5
	s_and_b64 s[4:5], s[2:3], vcc
	s_and_saveexec_b64 s[46:47], s[4:5]
	s_cbranch_execz .LBB62_15
; %bb.10:                               ;   in Loop: Header=BB62_9 Depth=2
	v_mov_b64_e32 v[26:27], 0
	s_mov_b64 s[48:49], 0
	v_mov_b32_e32 v22, v37
	v_mov_b64_e32 v[28:29], 0
	s_branch .LBB62_12
.LBB62_11:                              ;   in Loop: Header=BB62_12 Depth=3
	s_or_b64 exec, exec, s[4:5]
	v_cmp_le_i32_e32 vcc, v2, v3
	s_nop 1
	v_addc_co_u32_e32 v22, vcc, 0, v22, vcc
	v_cmp_ge_i32_e32 vcc, v2, v3
	s_nop 1
	v_addc_co_u32_e32 v24, vcc, 0, v24, vcc
	v_cmp_ge_i32_e32 vcc, v22, v36
	v_cmp_ge_i32_e64 s[4:5], v24, v21
	s_or_b64 s[4:5], vcc, s[4:5]
	s_and_b64 s[4:5], exec, s[4:5]
	s_or_b64 s[48:49], s[4:5], s[48:49]
	s_andn2_b64 exec, exec, s[48:49]
	s_cbranch_execz .LBB62_14
.LBB62_12:                              ;   Parent Loop BB62_5 Depth=1
                                        ;     Parent Loop BB62_9 Depth=2
                                        ; =>    This Inner Loop Header: Depth=3
	v_ashrrev_i32_e32 v23, 31, v22
	v_ashrrev_i32_e32 v25, 31, v24
	v_lshl_add_u64 v[2:3], v[22:23], 2, s[20:21]
	v_lshl_add_u64 v[4:5], v[24:25], 2, s[10:11]
	global_load_dword v2, v[2:3], off
	s_nop 0
	global_load_dword v3, v[4:5], off
	s_waitcnt vmcnt(0)
	v_cmp_eq_u32_e32 vcc, v2, v3
	s_and_saveexec_b64 s[4:5], vcc
	s_cbranch_execz .LBB62_11
; %bb.13:                               ;   in Loop: Header=BB62_12 Depth=3
	v_lshl_add_u64 v[4:5], v[24:25], 2, s[12:13]
	global_load_dword v4, v[4:5], off
	v_lshl_add_u64 v[40:41], v[22:23], 4, s[14:15]
	global_load_dwordx4 v[40:43], v[40:41], off
	s_waitcnt vmcnt(1)
	v_ashrrev_i32_e32 v5, 31, v4
	v_lshl_add_u64 v[4:5], v[4:5], 4, s[14:15]
	global_load_dwordx4 v[44:47], v[4:5], off
	s_waitcnt vmcnt(0)
	v_fmac_f64_e32 v[26:27], v[40:41], v[44:45]
	v_fmac_f64_e32 v[28:29], v[42:43], v[44:45]
	v_fma_f64 v[26:27], -v[42:43], v[46:47], v[26:27]
	v_fmac_f64_e32 v[28:29], v[40:41], v[46:47]
	s_branch .LBB62_11
.LBB62_14:                              ;   in Loop: Header=BB62_9 Depth=2
	s_or_b64 exec, exec, s[48:49]
.LBB62_15:                              ;   in Loop: Header=BB62_9 Depth=2
	s_or_b64 exec, exec, s[46:47]
	s_waitcnt vmcnt(1)
	v_add_f64 v[2:3], v[10:11], -v[26:27]
	v_add_f64 v[4:5], v[12:13], -v[28:29]
	v_cmp_gt_i32_e32 vcc, v16, v20
	s_and_saveexec_b64 s[4:5], vcc
	s_cbranch_execz .LBB62_17
; %bb.16:                               ;   in Loop: Header=BB62_9 Depth=2
	s_waitcnt vmcnt(0)
	v_mul_f64 v[40:41], v[8:9], v[8:9]
	v_fmac_f64_e32 v[40:41], v[6:7], v[6:7]
	v_div_scale_f64 v[42:43], s[46:47], v[40:41], v[40:41], 1.0
	v_rcp_f64_e32 v[44:45], v[42:43]
	v_div_scale_f64 v[46:47], vcc, 1.0, v[40:41], 1.0
	v_fma_f64 v[48:49], -v[42:43], v[44:45], 1.0
	v_fmac_f64_e32 v[44:45], v[44:45], v[48:49]
	v_fma_f64 v[48:49], -v[42:43], v[44:45], 1.0
	v_fmac_f64_e32 v[44:45], v[44:45], v[48:49]
	v_mul_f64 v[48:49], v[46:47], v[44:45]
	v_fma_f64 v[42:43], -v[42:43], v[48:49], v[46:47]
	v_div_fmas_f64 v[42:43], v[42:43], v[44:45], v[48:49]
	v_div_fixup_f64 v[40:41], v[42:43], v[40:41], 1.0
	v_mul_f64 v[42:43], v[8:9], v[4:5]
	v_fmac_f64_e32 v[42:43], v[2:3], v[6:7]
	v_mul_f64 v[2:3], v[8:9], -v[2:3]
	v_mul_f64 v[42:43], v[40:41], v[42:43]
	v_fmac_f64_e32 v[2:3], v[4:5], v[6:7]
	v_mul_f64 v[4:5], v[40:41], v[2:3]
	v_mov_b64_e32 v[2:3], v[42:43]
.LBB62_17:                              ;   in Loop: Header=BB62_9 Depth=2
	s_or_b64 exec, exec, s[4:5]
	v_add_f64 v[10:11], v[26:27], -v[10:11]
	v_add_f64 v[12:13], v[28:29], -v[12:13]
	v_cmp_lt_i32_e32 vcc, v24, v21
	s_and_saveexec_b64 s[4:5], vcc
	s_cbranch_execz .LBB62_25
; %bb.18:                               ;   in Loop: Header=BB62_9 Depth=2
	v_ashrrev_i32_e32 v25, 31, v24
	v_lshl_add_u64 v[26:27], v[24:25], 2, s[10:11]
	s_mov_b64 s[48:49], 0
                                        ; implicit-def: $sgpr46_sgpr47
                                        ; implicit-def: $sgpr52_sgpr53
                                        ; implicit-def: $sgpr50_sgpr51
	s_branch .LBB62_20
.LBB62_19:                              ;   in Loop: Header=BB62_20 Depth=3
	s_or_b64 exec, exec, s[54:55]
	s_and_b64 s[54:55], exec, s[52:53]
	s_or_b64 s[48:49], s[54:55], s[48:49]
	s_andn2_b64 s[46:47], s[46:47], exec
	s_and_b64 s[54:55], s[50:51], exec
	s_or_b64 s[46:47], s[46:47], s[54:55]
	s_andn2_b64 exec, exec, s[48:49]
	s_cbranch_execz .LBB62_22
.LBB62_20:                              ;   Parent Loop BB62_5 Depth=1
                                        ;     Parent Loop BB62_9 Depth=2
                                        ; =>    This Inner Loop Header: Depth=3
	global_load_dword v23, v[26:27], off
	v_mov_b64_e32 v[28:29], v[24:25]
	s_or_b64 s[50:51], s[50:51], exec
	s_or_b64 s[52:53], s[52:53], exec
                                        ; implicit-def: $vgpr24_vgpr25
	s_waitcnt vmcnt(0)
	v_subrev_u32_e32 v23, s56, v23
	v_cmp_ne_u32_e32 vcc, v23, v16
	s_and_saveexec_b64 s[54:55], vcc
	s_cbranch_execz .LBB62_19
; %bb.21:                               ;   in Loop: Header=BB62_20 Depth=3
	v_lshl_add_u64 v[24:25], v[28:29], 0, 1
	v_cmp_ge_i32_e32 vcc, v24, v21
	s_andn2_b64 s[52:53], s[52:53], exec
	s_and_b64 s[60:61], vcc, exec
	v_lshl_add_u64 v[26:27], v[26:27], 0, 4
	s_andn2_b64 s[50:51], s[50:51], exec
	s_or_b64 s[52:53], s[52:53], s[60:61]
	s_branch .LBB62_19
.LBB62_22:                              ;   in Loop: Header=BB62_9 Depth=2
	s_or_b64 exec, exec, s[48:49]
	s_and_saveexec_b64 s[48:49], s[46:47]
	s_xor_b64 s[46:47], exec, s[48:49]
	s_cbranch_execz .LBB62_24
; %bb.23:                               ;   in Loop: Header=BB62_9 Depth=2
	v_lshl_add_u64 v[24:25], v[28:29], 2, s[12:13]
	global_load_dword v24, v[24:25], off
	s_waitcnt vmcnt(0)
	v_ashrrev_i32_e32 v25, 31, v24
	v_lshl_add_u64 v[24:25], v[24:25], 4, s[14:15]
	global_load_dwordx4 v[24:27], v[24:25], off
	s_waitcnt vmcnt(0)
	v_add_f64 v[10:11], v[10:11], v[24:25]
	v_add_f64 v[12:13], v[12:13], v[26:27]
.LBB62_24:                              ;   in Loop: Header=BB62_9 Depth=2
	s_or_b64 exec, exec, s[46:47]
.LBB62_25:                              ;   in Loop: Header=BB62_9 Depth=2
	s_or_b64 exec, exec, s[4:5]
	v_cmp_lt_i32_e32 vcc, v22, v36
	s_and_saveexec_b64 s[4:5], vcc
	s_cbranch_execz .LBB62_33
; %bb.26:                               ;   in Loop: Header=BB62_9 Depth=2
	v_ashrrev_i32_e32 v23, 31, v22
	v_lshl_add_u64 v[24:25], v[22:23], 2, s[20:21]
	s_mov_b64 s[48:49], 0
                                        ; implicit-def: $sgpr46_sgpr47
                                        ; implicit-def: $sgpr52_sgpr53
                                        ; implicit-def: $sgpr50_sgpr51
	s_branch .LBB62_28
.LBB62_27:                              ;   in Loop: Header=BB62_28 Depth=3
	s_or_b64 exec, exec, s[54:55]
	s_and_b64 s[54:55], exec, s[52:53]
	s_or_b64 s[48:49], s[54:55], s[48:49]
	s_andn2_b64 s[46:47], s[46:47], exec
	s_and_b64 s[54:55], s[50:51], exec
	s_or_b64 s[46:47], s[46:47], s[54:55]
	s_andn2_b64 exec, exec, s[48:49]
	s_cbranch_execz .LBB62_30
.LBB62_28:                              ;   Parent Loop BB62_5 Depth=1
                                        ;     Parent Loop BB62_9 Depth=2
                                        ; =>    This Inner Loop Header: Depth=3
	global_load_dword v21, v[24:25], off
	v_mov_b64_e32 v[26:27], v[22:23]
	s_or_b64 s[50:51], s[50:51], exec
	s_or_b64 s[52:53], s[52:53], exec
                                        ; implicit-def: $vgpr22_vgpr23
	s_waitcnt vmcnt(0)
	v_cmp_ne_u32_e32 vcc, v21, v38
	s_and_saveexec_b64 s[54:55], vcc
	s_cbranch_execz .LBB62_27
; %bb.29:                               ;   in Loop: Header=BB62_28 Depth=3
	v_lshl_add_u64 v[22:23], v[26:27], 0, 1
	v_cmp_ge_i32_e32 vcc, v22, v36
	s_andn2_b64 s[52:53], s[52:53], exec
	s_and_b64 s[60:61], vcc, exec
	v_lshl_add_u64 v[24:25], v[24:25], 0, 4
	s_andn2_b64 s[50:51], s[50:51], exec
	s_or_b64 s[52:53], s[52:53], s[60:61]
	s_branch .LBB62_27
.LBB62_30:                              ;   in Loop: Header=BB62_9 Depth=2
	s_or_b64 exec, exec, s[48:49]
	s_and_saveexec_b64 s[48:49], s[46:47]
	s_xor_b64 s[46:47], exec, s[48:49]
	s_cbranch_execz .LBB62_32
; %bb.31:                               ;   in Loop: Header=BB62_9 Depth=2
	v_lshl_add_u64 v[22:23], v[26:27], 4, s[14:15]
	global_load_dwordx4 v[22:25], v[22:23], off
	s_waitcnt vmcnt(0)
	v_fmac_f64_e32 v[10:11], v[22:23], v[6:7]
	v_fmac_f64_e32 v[12:13], v[24:25], v[6:7]
	v_fma_f64 v[10:11], -v[24:25], v[8:9], v[10:11]
	v_fmac_f64_e32 v[12:13], v[22:23], v[8:9]
.LBB62_32:                              ;   in Loop: Header=BB62_9 Depth=2
	s_or_b64 exec, exec, s[46:47]
.LBB62_33:                              ;   in Loop: Header=BB62_9 Depth=2
	s_or_b64 exec, exec, s[4:5]
	s_waitcnt vmcnt(0)
	v_add_f64 v[6:7], v[6:7], v[10:11]
	v_add_f64 v[8:9], v[8:9], v[12:13]
	v_cmp_eq_u32_e32 vcc, v16, v20
	s_nop 1
	v_cndmask_b32_e32 v12, v12, v8, vcc
	v_cndmask_b32_e32 v8, v10, v6, vcc
	;; [unrolled: 1-line block ×4, first 2 shown]
	v_xor_b32_e32 v9, 0x80000000, v6
	v_cmp_lt_f64_e32 vcc, s[34:35], v[8:9]
	v_mov_b32_e32 v10, v12
	s_nop 0
	v_cndmask_b32_e32 v9, v6, v9, vcc
	v_xor_b32_e32 v6, 0x80000000, v13
	v_cmp_gt_f64_e32 vcc, 0, v[12:13]
	s_nop 1
	v_cndmask_b32_e32 v11, v13, v6, vcc
	v_cmp_ngt_f64_e32 vcc, v[8:9], v[10:11]
                                        ; implicit-def: $vgpr6_vgpr7
	s_and_saveexec_b64 s[4:5], vcc
	s_xor_b64 s[4:5], exec, s[4:5]
	s_cbranch_execz .LBB62_37
; %bb.34:                               ;   in Loop: Header=BB62_9 Depth=2
	v_mov_b64_e32 v[6:7], 0
	v_cmp_neq_f64_e32 vcc, 0, v[12:13]
	s_and_saveexec_b64 s[46:47], vcc
	s_cbranch_execz .LBB62_36
; %bb.35:                               ;   in Loop: Header=BB62_9 Depth=2
	v_div_scale_f64 v[6:7], s[48:49], v[10:11], v[10:11], v[8:9]
	v_rcp_f64_e32 v[12:13], v[6:7]
	v_div_scale_f64 v[20:21], vcc, v[8:9], v[10:11], v[8:9]
	v_fma_f64 v[22:23], -v[6:7], v[12:13], 1.0
	v_fmac_f64_e32 v[12:13], v[12:13], v[22:23]
	v_fma_f64 v[22:23], -v[6:7], v[12:13], 1.0
	v_fmac_f64_e32 v[12:13], v[12:13], v[22:23]
	v_mul_f64 v[22:23], v[20:21], v[12:13]
	v_fma_f64 v[6:7], -v[6:7], v[22:23], v[20:21]
	v_div_fmas_f64 v[6:7], v[6:7], v[12:13], v[22:23]
	v_div_fixup_f64 v[6:7], v[6:7], v[10:11], v[8:9]
	v_fma_f64 v[6:7], v[6:7], v[6:7], 1.0
	v_cmp_gt_f64_e32 vcc, s[36:37], v[6:7]
	s_nop 1
	v_cndmask_b32_e32 v8, 0, v34, vcc
	v_ldexp_f64 v[6:7], v[6:7], v8
	v_rsq_f64_e32 v[8:9], v[6:7]
	s_nop 0
	v_mul_f64 v[12:13], v[6:7], v[8:9]
	v_mul_f64 v[8:9], v[8:9], 0.5
	v_fma_f64 v[20:21], -v[8:9], v[12:13], 0.5
	v_fmac_f64_e32 v[12:13], v[12:13], v[20:21]
	v_fma_f64 v[22:23], -v[12:13], v[12:13], v[6:7]
	v_fmac_f64_e32 v[8:9], v[8:9], v[20:21]
	v_fmac_f64_e32 v[12:13], v[22:23], v[8:9]
	v_fma_f64 v[20:21], -v[12:13], v[12:13], v[6:7]
	v_fmac_f64_e32 v[12:13], v[20:21], v[8:9]
	v_cndmask_b32_e32 v8, 0, v35, vcc
	v_ldexp_f64 v[8:9], v[12:13], v8
	v_cmp_class_f64_e32 vcc, v[6:7], v33
	s_nop 1
	v_cndmask_b32_e32 v7, v9, v7, vcc
	v_cndmask_b32_e32 v6, v8, v6, vcc
	v_mul_f64 v[6:7], v[10:11], v[6:7]
.LBB62_36:                              ;   in Loop: Header=BB62_9 Depth=2
	s_or_b64 exec, exec, s[46:47]
                                        ; implicit-def: $vgpr8_vgpr9
                                        ; implicit-def: $vgpr10_vgpr11
.LBB62_37:                              ;   in Loop: Header=BB62_9 Depth=2
	s_andn2_saveexec_b64 s[4:5], s[4:5]
	s_cbranch_execz .LBB62_39
; %bb.38:                               ;   in Loop: Header=BB62_9 Depth=2
	v_div_scale_f64 v[6:7], s[46:47], v[8:9], v[8:9], v[10:11]
	v_rcp_f64_e32 v[12:13], v[6:7]
	v_div_scale_f64 v[20:21], vcc, v[10:11], v[8:9], v[10:11]
	v_fma_f64 v[22:23], -v[6:7], v[12:13], 1.0
	v_fmac_f64_e32 v[12:13], v[12:13], v[22:23]
	v_fma_f64 v[22:23], -v[6:7], v[12:13], 1.0
	v_fmac_f64_e32 v[12:13], v[12:13], v[22:23]
	v_mul_f64 v[22:23], v[20:21], v[12:13]
	v_fma_f64 v[6:7], -v[6:7], v[22:23], v[20:21]
	v_div_fmas_f64 v[6:7], v[6:7], v[12:13], v[22:23]
	v_div_fixup_f64 v[6:7], v[6:7], v[8:9], v[10:11]
	v_fma_f64 v[6:7], v[6:7], v[6:7], 1.0
	v_cmp_gt_f64_e32 vcc, s[36:37], v[6:7]
	s_nop 1
	v_cndmask_b32_e32 v10, 0, v34, vcc
	v_ldexp_f64 v[6:7], v[6:7], v10
	v_rsq_f64_e32 v[10:11], v[6:7]
	s_nop 0
	v_mul_f64 v[12:13], v[6:7], v[10:11]
	v_mul_f64 v[10:11], v[10:11], 0.5
	v_fma_f64 v[20:21], -v[10:11], v[12:13], 0.5
	v_fmac_f64_e32 v[12:13], v[12:13], v[20:21]
	v_fma_f64 v[22:23], -v[12:13], v[12:13], v[6:7]
	v_fmac_f64_e32 v[10:11], v[10:11], v[20:21]
	v_fmac_f64_e32 v[12:13], v[22:23], v[10:11]
	v_fma_f64 v[20:21], -v[12:13], v[12:13], v[6:7]
	v_fmac_f64_e32 v[12:13], v[20:21], v[10:11]
	v_cndmask_b32_e32 v10, 0, v35, vcc
	v_ldexp_f64 v[10:11], v[12:13], v10
	v_cmp_class_f64_e32 vcc, v[6:7], v33
	s_nop 1
	v_cndmask_b32_e32 v7, v11, v7, vcc
	v_cndmask_b32_e32 v6, v10, v6, vcc
	v_mul_f64 v[6:7], v[8:9], v[6:7]
.LBB62_39:                              ;   in Loop: Header=BB62_9 Depth=2
	s_or_b64 exec, exec, s[4:5]
	v_xor_b32_e32 v8, 0x80000000, v3
	v_cmp_gt_f64_e32 vcc, 0, v[2:3]
	v_xor_b32_e32 v10, 0x80000000, v5
                                        ; implicit-def: $vgpr12_vgpr13
	s_nop 0
	v_cndmask_b32_e32 v9, v3, v8, vcc
	v_cmp_gt_f64_e32 vcc, 0, v[4:5]
	v_mov_b32_e32 v8, v2
	s_nop 0
	v_cndmask_b32_e32 v11, v5, v10, vcc
	v_mov_b32_e32 v10, v4
	v_cmp_ngt_f64_e32 vcc, v[8:9], v[10:11]
	s_and_saveexec_b64 s[4:5], vcc
	s_xor_b64 s[4:5], exec, s[4:5]
	s_cbranch_execnz .LBB62_42
; %bb.40:                               ;   in Loop: Header=BB62_9 Depth=2
	s_andn2_saveexec_b64 s[4:5], s[4:5]
	s_cbranch_execnz .LBB62_45
.LBB62_41:                              ;   in Loop: Header=BB62_9 Depth=2
	s_or_b64 exec, exec, s[4:5]
	v_cmp_class_f64_e64 s[46:47], v[12:13], s58
	s_and_saveexec_b64 s[4:5], s[46:47]
	s_cbranch_execz .LBB62_8
	s_branch .LBB62_46
.LBB62_42:                              ;   in Loop: Header=BB62_9 Depth=2
	v_mov_b64_e32 v[12:13], 0
	v_cmp_neq_f64_e32 vcc, 0, v[4:5]
	s_and_saveexec_b64 s[46:47], vcc
	s_cbranch_execz .LBB62_44
; %bb.43:                               ;   in Loop: Header=BB62_9 Depth=2
	v_div_scale_f64 v[12:13], s[48:49], v[10:11], v[10:11], v[8:9]
	v_rcp_f64_e32 v[20:21], v[12:13]
	v_div_scale_f64 v[22:23], vcc, v[8:9], v[10:11], v[8:9]
	v_fma_f64 v[24:25], -v[12:13], v[20:21], 1.0
	v_fmac_f64_e32 v[20:21], v[20:21], v[24:25]
	v_fma_f64 v[24:25], -v[12:13], v[20:21], 1.0
	v_fmac_f64_e32 v[20:21], v[20:21], v[24:25]
	v_mul_f64 v[24:25], v[22:23], v[20:21]
	v_fma_f64 v[12:13], -v[12:13], v[24:25], v[22:23]
	v_div_fmas_f64 v[12:13], v[12:13], v[20:21], v[24:25]
	v_div_fixup_f64 v[8:9], v[12:13], v[10:11], v[8:9]
	v_fma_f64 v[8:9], v[8:9], v[8:9], 1.0
	v_cmp_gt_f64_e32 vcc, s[36:37], v[8:9]
	s_nop 1
	v_cndmask_b32_e32 v12, 0, v34, vcc
	v_ldexp_f64 v[8:9], v[8:9], v12
	v_rsq_f64_e32 v[12:13], v[8:9]
	s_nop 0
	v_mul_f64 v[20:21], v[8:9], v[12:13]
	v_mul_f64 v[12:13], v[12:13], 0.5
	v_fma_f64 v[22:23], -v[12:13], v[20:21], 0.5
	v_fmac_f64_e32 v[20:21], v[20:21], v[22:23]
	v_fma_f64 v[24:25], -v[20:21], v[20:21], v[8:9]
	v_fmac_f64_e32 v[12:13], v[12:13], v[22:23]
	v_fmac_f64_e32 v[20:21], v[24:25], v[12:13]
	v_fma_f64 v[22:23], -v[20:21], v[20:21], v[8:9]
	v_fmac_f64_e32 v[20:21], v[22:23], v[12:13]
	v_cndmask_b32_e32 v12, 0, v35, vcc
	v_ldexp_f64 v[12:13], v[20:21], v12
	v_cmp_class_f64_e32 vcc, v[8:9], v33
	s_nop 1
	v_cndmask_b32_e32 v9, v13, v9, vcc
	v_cndmask_b32_e32 v8, v12, v8, vcc
	v_mul_f64 v[12:13], v[10:11], v[8:9]
.LBB62_44:                              ;   in Loop: Header=BB62_9 Depth=2
	s_or_b64 exec, exec, s[46:47]
                                        ; implicit-def: $vgpr8_vgpr9
                                        ; implicit-def: $vgpr10_vgpr11
	s_andn2_saveexec_b64 s[4:5], s[4:5]
	s_cbranch_execz .LBB62_41
.LBB62_45:                              ;   in Loop: Header=BB62_9 Depth=2
	v_div_scale_f64 v[12:13], s[46:47], v[8:9], v[8:9], v[10:11]
	v_rcp_f64_e32 v[20:21], v[12:13]
	v_div_scale_f64 v[22:23], vcc, v[10:11], v[8:9], v[10:11]
	v_fma_f64 v[24:25], -v[12:13], v[20:21], 1.0
	v_fmac_f64_e32 v[20:21], v[20:21], v[24:25]
	v_fma_f64 v[24:25], -v[12:13], v[20:21], 1.0
	v_fmac_f64_e32 v[20:21], v[20:21], v[24:25]
	v_mul_f64 v[24:25], v[22:23], v[20:21]
	v_fma_f64 v[12:13], -v[12:13], v[24:25], v[22:23]
	v_div_fmas_f64 v[12:13], v[12:13], v[20:21], v[24:25]
	v_div_fixup_f64 v[10:11], v[12:13], v[8:9], v[10:11]
	v_fma_f64 v[10:11], v[10:11], v[10:11], 1.0
	v_cmp_gt_f64_e32 vcc, s[36:37], v[10:11]
	s_nop 1
	v_cndmask_b32_e32 v12, 0, v34, vcc
	v_ldexp_f64 v[10:11], v[10:11], v12
	v_rsq_f64_e32 v[12:13], v[10:11]
	s_nop 0
	v_mul_f64 v[20:21], v[10:11], v[12:13]
	v_mul_f64 v[12:13], v[12:13], 0.5
	v_fma_f64 v[22:23], -v[12:13], v[20:21], 0.5
	v_fmac_f64_e32 v[20:21], v[20:21], v[22:23]
	v_fma_f64 v[24:25], -v[20:21], v[20:21], v[10:11]
	v_fmac_f64_e32 v[12:13], v[12:13], v[22:23]
	v_fmac_f64_e32 v[20:21], v[24:25], v[12:13]
	v_fma_f64 v[22:23], -v[20:21], v[20:21], v[10:11]
	v_fmac_f64_e32 v[20:21], v[22:23], v[12:13]
	v_cndmask_b32_e32 v12, 0, v35, vcc
	v_ldexp_f64 v[12:13], v[20:21], v12
	v_cmp_class_f64_e32 vcc, v[10:11], v33
	s_nop 1
	v_cndmask_b32_e32 v11, v13, v11, vcc
	v_cndmask_b32_e32 v10, v12, v10, vcc
	v_mul_f64 v[12:13], v[8:9], v[10:11]
	s_or_b64 exec, exec, s[4:5]
	v_cmp_class_f64_e64 s[46:47], v[12:13], s58
	s_and_saveexec_b64 s[4:5], s[46:47]
	s_cbranch_execz .LBB62_8
.LBB62_46:                              ;   in Loop: Header=BB62_9 Depth=2
	v_lshl_add_u64 v[8:9], v[18:19], 4, s[14:15]
	global_store_dwordx4 v[8:9], v[2:5], off
	s_branch .LBB62_8
.LBB62_47:
	s_or_b64 exec, exec, s[6:7]
	v_mov_b32_dpp v2, v14 row_shr:1 row_mask:0xf bank_mask:0xf
	v_mov_b32_dpp v3, v15 row_shr:1 row_mask:0xf bank_mask:0xf
	v_cmp_lt_f64_e32 vcc, v[14:15], v[2:3]
	s_nop 1
	v_cndmask_b32_e32 v3, v15, v3, vcc
	v_cndmask_b32_e32 v2, v14, v2, vcc
	s_nop 0
	v_mov_b32_dpp v5, v3 row_shr:2 row_mask:0xf bank_mask:0xf
	v_mov_b32_dpp v4, v2 row_shr:2 row_mask:0xf bank_mask:0xf
	v_cmp_lt_f64_e32 vcc, v[2:3], v[4:5]
	s_nop 1
	v_cndmask_b32_e32 v3, v3, v5, vcc
	v_cndmask_b32_e32 v2, v2, v4, vcc
	s_nop 0
	;; [unrolled: 7-line block ×4, first 2 shown]
	v_mov_b32_dpp v5, v3 row_bcast:15 row_mask:0xa bank_mask:0xf
	v_mov_b32_dpp v4, v2 row_bcast:15 row_mask:0xa bank_mask:0xf
	v_cmp_lt_f64_e32 vcc, v[2:3], v[4:5]
	s_nop 1
	v_cndmask_b32_e32 v3, v3, v5, vcc
	v_cndmask_b32_e32 v2, v2, v4, vcc
	v_cmp_eq_u32_e32 vcc, 63, v30
	v_mov_b32_dpp v6, v3 row_bcast:31 row_mask:0xc bank_mask:0xf
	v_mov_b32_dpp v4, v2 row_bcast:31 row_mask:0xc bank_mask:0xf
	s_and_saveexec_b64 s[2:3], vcc
	s_cbranch_execz .LBB62_49
; %bb.48:
	v_mov_b32_e32 v5, v6
	v_cmp_lt_f64_e32 vcc, v[2:3], v[4:5]
	v_lshlrev_b32_e32 v1, 3, v1
	s_nop 0
	v_cndmask_b32_e32 v3, v3, v6, vcc
	v_cndmask_b32_e32 v2, v2, v4, vcc
	ds_write_b64 v1, v[2:3]
.LBB62_49:
	s_or_b64 exec, exec, s[2:3]
	v_cmp_gt_u32_e32 vcc, 8, v0
	v_lshlrev_b32_e32 v1, 3, v0
	s_waitcnt lgkmcnt(0)
	s_barrier
	s_and_saveexec_b64 s[2:3], vcc
	s_cbranch_execz .LBB62_51
; %bb.50:
	ds_read2_b64 v[2:5], v1 offset1:8
	s_waitcnt lgkmcnt(0)
	v_cmp_lt_f64_e32 vcc, v[2:3], v[4:5]
	s_nop 1
	v_cndmask_b32_e32 v3, v3, v5, vcc
	v_cndmask_b32_e32 v2, v2, v4, vcc
	ds_write_b64 v1, v[2:3]
.LBB62_51:
	s_or_b64 exec, exec, s[2:3]
	v_cmp_gt_u32_e32 vcc, 4, v0
	s_waitcnt lgkmcnt(0)
	s_barrier
	s_and_saveexec_b64 s[2:3], vcc
	s_cbranch_execz .LBB62_53
; %bb.52:
	ds_read2_b64 v[2:5], v1 offset1:4
	s_waitcnt lgkmcnt(0)
	v_cmp_lt_f64_e32 vcc, v[2:3], v[4:5]
	s_nop 1
	v_cndmask_b32_e32 v3, v3, v5, vcc
	v_cndmask_b32_e32 v2, v2, v4, vcc
	ds_write_b64 v1, v[2:3]
.LBB62_53:
	s_or_b64 exec, exec, s[2:3]
	v_cmp_gt_u32_e32 vcc, 2, v0
	s_waitcnt lgkmcnt(0)
	s_barrier
	s_and_saveexec_b64 s[2:3], vcc
	s_cbranch_execz .LBB62_55
; %bb.54:
	ds_read2_b64 v[2:5], v1 offset1:2
	s_waitcnt lgkmcnt(0)
	v_cmp_lt_f64_e32 vcc, v[2:3], v[4:5]
	s_nop 1
	v_cndmask_b32_e32 v3, v3, v5, vcc
	v_cndmask_b32_e32 v2, v2, v4, vcc
	ds_write_b64 v1, v[2:3]
.LBB62_55:
	s_or_b64 exec, exec, s[2:3]
	v_cmp_eq_u32_e32 vcc, 0, v0
	s_waitcnt lgkmcnt(0)
	s_barrier
	s_and_saveexec_b64 s[4:5], vcc
	s_cbranch_execz .LBB62_57
; %bb.56:
	v_mov_b32_e32 v4, 0
	ds_read_b128 v[0:3], v4
	s_waitcnt lgkmcnt(0)
	v_cmp_lt_f64_e64 s[2:3], v[0:1], v[2:3]
	s_nop 1
	v_cndmask_b32_e64 v1, v1, v3, s[2:3]
	v_cndmask_b32_e64 v0, v0, v2, s[2:3]
	ds_write_b64 v4, v[0:1]
.LBB62_57:
	s_or_b64 exec, exec, s[4:5]
	s_waitcnt lgkmcnt(0)
	s_barrier
	s_and_saveexec_b64 s[2:3], vcc
	s_cbranch_execz .LBB62_60
; %bb.58:
	v_mbcnt_lo_u32_b32 v0, exec_lo, 0
	v_mbcnt_hi_u32_b32 v0, exec_hi, v0
	v_cmp_eq_u32_e32 vcc, 0, v0
	s_and_b64 exec, exec, vcc
	s_cbranch_execz .LBB62_60
; %bb.59:
	s_load_dwordx4 s[0:3], s[0:1], 0x70
	v_mov_b32_e32 v10, 0
	ds_read_b64 v[0:1], v10
	s_waitcnt lgkmcnt(0)
	s_load_dwordx2 s[2:3], s[2:3], 0x0
	s_waitcnt lgkmcnt(0)
	v_div_scale_f64 v[2:3], s[4:5], s[2:3], s[2:3], v[0:1]
	v_rcp_f64_e32 v[4:5], v[2:3]
	v_div_scale_f64 v[6:7], vcc, v[0:1], s[2:3], v[0:1]
	v_fma_f64 v[8:9], -v[2:3], v[4:5], 1.0
	v_fmac_f64_e32 v[4:5], v[4:5], v[8:9]
	v_fma_f64 v[8:9], -v[2:3], v[4:5], 1.0
	v_fmac_f64_e32 v[4:5], v[4:5], v[8:9]
	v_mul_f64 v[8:9], v[6:7], v[4:5]
	v_fma_f64 v[2:3], -v[2:3], v[8:9], v[6:7]
	v_div_fmas_f64 v[2:3], v[2:3], v[4:5], v[8:9]
	v_div_fixup_f64 v[0:1], v[2:3], s[2:3], v[0:1]
	global_atomic_max_f64 v10, v[0:1], s[0:1]
.LBB62_60:
	s_endpgm
	.section	.rodata,"a",@progbits
	.p2align	6, 0x0
	.amdhsa_kernel _ZN9rocsparseL16kernel_calculateILi1024ELi64ELb1E21rocsparse_complex_numIdEiiEEvT4_T3_PKS4_S6_PKS3_PKT2_21rocsparse_index_base_S6_S6_S8_S6_S6_S8_S6_PS9_PNS_15floating_traitsIS9_E6data_tEPKSG_
		.amdhsa_group_segment_fixed_size 128
		.amdhsa_private_segment_fixed_size 0
		.amdhsa_kernarg_size 128
		.amdhsa_user_sgpr_count 2
		.amdhsa_user_sgpr_dispatch_ptr 0
		.amdhsa_user_sgpr_queue_ptr 0
		.amdhsa_user_sgpr_kernarg_segment_ptr 1
		.amdhsa_user_sgpr_dispatch_id 0
		.amdhsa_user_sgpr_kernarg_preload_length 0
		.amdhsa_user_sgpr_kernarg_preload_offset 0
		.amdhsa_user_sgpr_private_segment_size 0
		.amdhsa_uses_dynamic_stack 0
		.amdhsa_enable_private_segment 0
		.amdhsa_system_sgpr_workgroup_id_x 1
		.amdhsa_system_sgpr_workgroup_id_y 0
		.amdhsa_system_sgpr_workgroup_id_z 0
		.amdhsa_system_sgpr_workgroup_info 0
		.amdhsa_system_vgpr_workitem_id 0
		.amdhsa_next_free_vgpr 50
		.amdhsa_next_free_sgpr 62
		.amdhsa_accum_offset 52
		.amdhsa_reserve_vcc 1
		.amdhsa_float_round_mode_32 0
		.amdhsa_float_round_mode_16_64 0
		.amdhsa_float_denorm_mode_32 3
		.amdhsa_float_denorm_mode_16_64 3
		.amdhsa_dx10_clamp 1
		.amdhsa_ieee_mode 1
		.amdhsa_fp16_overflow 0
		.amdhsa_tg_split 0
		.amdhsa_exception_fp_ieee_invalid_op 0
		.amdhsa_exception_fp_denorm_src 0
		.amdhsa_exception_fp_ieee_div_zero 0
		.amdhsa_exception_fp_ieee_overflow 0
		.amdhsa_exception_fp_ieee_underflow 0
		.amdhsa_exception_fp_ieee_inexact 0
		.amdhsa_exception_int_div_zero 0
	.end_amdhsa_kernel
	.section	.text._ZN9rocsparseL16kernel_calculateILi1024ELi64ELb1E21rocsparse_complex_numIdEiiEEvT4_T3_PKS4_S6_PKS3_PKT2_21rocsparse_index_base_S6_S6_S8_S6_S6_S8_S6_PS9_PNS_15floating_traitsIS9_E6data_tEPKSG_,"axG",@progbits,_ZN9rocsparseL16kernel_calculateILi1024ELi64ELb1E21rocsparse_complex_numIdEiiEEvT4_T3_PKS4_S6_PKS3_PKT2_21rocsparse_index_base_S6_S6_S8_S6_S6_S8_S6_PS9_PNS_15floating_traitsIS9_E6data_tEPKSG_,comdat
.Lfunc_end62:
	.size	_ZN9rocsparseL16kernel_calculateILi1024ELi64ELb1E21rocsparse_complex_numIdEiiEEvT4_T3_PKS4_S6_PKS3_PKT2_21rocsparse_index_base_S6_S6_S8_S6_S6_S8_S6_PS9_PNS_15floating_traitsIS9_E6data_tEPKSG_, .Lfunc_end62-_ZN9rocsparseL16kernel_calculateILi1024ELi64ELb1E21rocsparse_complex_numIdEiiEEvT4_T3_PKS4_S6_PKS3_PKT2_21rocsparse_index_base_S6_S6_S8_S6_S6_S8_S6_PS9_PNS_15floating_traitsIS9_E6data_tEPKSG_
                                        ; -- End function
	.set _ZN9rocsparseL16kernel_calculateILi1024ELi64ELb1E21rocsparse_complex_numIdEiiEEvT4_T3_PKS4_S6_PKS3_PKT2_21rocsparse_index_base_S6_S6_S8_S6_S6_S8_S6_PS9_PNS_15floating_traitsIS9_E6data_tEPKSG_.num_vgpr, 50
	.set _ZN9rocsparseL16kernel_calculateILi1024ELi64ELb1E21rocsparse_complex_numIdEiiEEvT4_T3_PKS4_S6_PKS3_PKT2_21rocsparse_index_base_S6_S6_S8_S6_S6_S8_S6_PS9_PNS_15floating_traitsIS9_E6data_tEPKSG_.num_agpr, 0
	.set _ZN9rocsparseL16kernel_calculateILi1024ELi64ELb1E21rocsparse_complex_numIdEiiEEvT4_T3_PKS4_S6_PKS3_PKT2_21rocsparse_index_base_S6_S6_S8_S6_S6_S8_S6_PS9_PNS_15floating_traitsIS9_E6data_tEPKSG_.numbered_sgpr, 62
	.set _ZN9rocsparseL16kernel_calculateILi1024ELi64ELb1E21rocsparse_complex_numIdEiiEEvT4_T3_PKS4_S6_PKS3_PKT2_21rocsparse_index_base_S6_S6_S8_S6_S6_S8_S6_PS9_PNS_15floating_traitsIS9_E6data_tEPKSG_.num_named_barrier, 0
	.set _ZN9rocsparseL16kernel_calculateILi1024ELi64ELb1E21rocsparse_complex_numIdEiiEEvT4_T3_PKS4_S6_PKS3_PKT2_21rocsparse_index_base_S6_S6_S8_S6_S6_S8_S6_PS9_PNS_15floating_traitsIS9_E6data_tEPKSG_.private_seg_size, 0
	.set _ZN9rocsparseL16kernel_calculateILi1024ELi64ELb1E21rocsparse_complex_numIdEiiEEvT4_T3_PKS4_S6_PKS3_PKT2_21rocsparse_index_base_S6_S6_S8_S6_S6_S8_S6_PS9_PNS_15floating_traitsIS9_E6data_tEPKSG_.uses_vcc, 1
	.set _ZN9rocsparseL16kernel_calculateILi1024ELi64ELb1E21rocsparse_complex_numIdEiiEEvT4_T3_PKS4_S6_PKS3_PKT2_21rocsparse_index_base_S6_S6_S8_S6_S6_S8_S6_PS9_PNS_15floating_traitsIS9_E6data_tEPKSG_.uses_flat_scratch, 0
	.set _ZN9rocsparseL16kernel_calculateILi1024ELi64ELb1E21rocsparse_complex_numIdEiiEEvT4_T3_PKS4_S6_PKS3_PKT2_21rocsparse_index_base_S6_S6_S8_S6_S6_S8_S6_PS9_PNS_15floating_traitsIS9_E6data_tEPKSG_.has_dyn_sized_stack, 0
	.set _ZN9rocsparseL16kernel_calculateILi1024ELi64ELb1E21rocsparse_complex_numIdEiiEEvT4_T3_PKS4_S6_PKS3_PKT2_21rocsparse_index_base_S6_S6_S8_S6_S6_S8_S6_PS9_PNS_15floating_traitsIS9_E6data_tEPKSG_.has_recursion, 0
	.set _ZN9rocsparseL16kernel_calculateILi1024ELi64ELb1E21rocsparse_complex_numIdEiiEEvT4_T3_PKS4_S6_PKS3_PKT2_21rocsparse_index_base_S6_S6_S8_S6_S6_S8_S6_PS9_PNS_15floating_traitsIS9_E6data_tEPKSG_.has_indirect_call, 0
	.section	.AMDGPU.csdata,"",@progbits
; Kernel info:
; codeLenInByte = 3196
; TotalNumSgprs: 68
; NumVgprs: 50
; NumAgprs: 0
; TotalNumVgprs: 50
; ScratchSize: 0
; MemoryBound: 1
; FloatMode: 240
; IeeeMode: 1
; LDSByteSize: 128 bytes/workgroup (compile time only)
; SGPRBlocks: 8
; VGPRBlocks: 6
; NumSGPRsForWavesPerEU: 68
; NumVGPRsForWavesPerEU: 50
; AccumOffset: 52
; Occupancy: 8
; WaveLimiterHint : 1
; COMPUTE_PGM_RSRC2:SCRATCH_EN: 0
; COMPUTE_PGM_RSRC2:USER_SGPR: 2
; COMPUTE_PGM_RSRC2:TRAP_HANDLER: 0
; COMPUTE_PGM_RSRC2:TGID_X_EN: 1
; COMPUTE_PGM_RSRC2:TGID_Y_EN: 0
; COMPUTE_PGM_RSRC2:TGID_Z_EN: 0
; COMPUTE_PGM_RSRC2:TIDIG_COMP_CNT: 0
; COMPUTE_PGM_RSRC3_GFX90A:ACCUM_OFFSET: 12
; COMPUTE_PGM_RSRC3_GFX90A:TG_SPLIT: 0
	.section	.text._ZN9rocsparseL16kernel_calculateILi1024ELi1ELb0E21rocsparse_complex_numIdEiiEEvT4_T3_PKS4_S6_PKS3_PKT2_21rocsparse_index_base_S6_S6_S8_S6_S6_S8_S6_PS9_PNS_15floating_traitsIS9_E6data_tEPKSG_,"axG",@progbits,_ZN9rocsparseL16kernel_calculateILi1024ELi1ELb0E21rocsparse_complex_numIdEiiEEvT4_T3_PKS4_S6_PKS3_PKT2_21rocsparse_index_base_S6_S6_S8_S6_S6_S8_S6_PS9_PNS_15floating_traitsIS9_E6data_tEPKSG_,comdat
	.globl	_ZN9rocsparseL16kernel_calculateILi1024ELi1ELb0E21rocsparse_complex_numIdEiiEEvT4_T3_PKS4_S6_PKS3_PKT2_21rocsparse_index_base_S6_S6_S8_S6_S6_S8_S6_PS9_PNS_15floating_traitsIS9_E6data_tEPKSG_ ; -- Begin function _ZN9rocsparseL16kernel_calculateILi1024ELi1ELb0E21rocsparse_complex_numIdEiiEEvT4_T3_PKS4_S6_PKS3_PKT2_21rocsparse_index_base_S6_S6_S8_S6_S6_S8_S6_PS9_PNS_15floating_traitsIS9_E6data_tEPKSG_
	.p2align	8
	.type	_ZN9rocsparseL16kernel_calculateILi1024ELi1ELb0E21rocsparse_complex_numIdEiiEEvT4_T3_PKS4_S6_PKS3_PKT2_21rocsparse_index_base_S6_S6_S8_S6_S6_S8_S6_PS9_PNS_15floating_traitsIS9_E6data_tEPKSG_,@function
_ZN9rocsparseL16kernel_calculateILi1024ELi1ELb0E21rocsparse_complex_numIdEiiEEvT4_T3_PKS4_S6_PKS3_PKT2_21rocsparse_index_base_S6_S6_S8_S6_S6_S8_S6_PS9_PNS_15floating_traitsIS9_E6data_tEPKSG_: ; @_ZN9rocsparseL16kernel_calculateILi1024ELi1ELb0E21rocsparse_complex_numIdEiiEEvT4_T3_PKS4_S6_PKS3_PKT2_21rocsparse_index_base_S6_S6_S8_S6_S6_S8_S6_PS9_PNS_15floating_traitsIS9_E6data_tEPKSG_
; %bb.0:
	s_load_dword s3, s[0:1], 0x0
	v_lshl_or_b32 v8, s2, 10, v0
	s_waitcnt lgkmcnt(0)
	v_cmp_gt_i32_e32 vcc, s3, v8
	s_and_saveexec_b64 s[2:3], vcc
	s_cbranch_execz .LBB63_20
; %bb.1:
	s_load_dwordx4 s[4:7], s[0:1], 0x8
	v_ashrrev_i32_e32 v9, 31, v8
	v_lshlrev_b64 v[0:1], 2, v[8:9]
	s_waitcnt lgkmcnt(0)
	v_lshl_add_u64 v[4:5], s[6:7], 0, v[0:1]
	v_lshl_add_u64 v[6:7], s[4:5], 0, v[0:1]
	global_load_dword v2, v[4:5], off
	global_load_dword v3, v[6:7], off
	s_waitcnt vmcnt(0)
	v_cmp_lt_i32_e32 vcc, v3, v2
	s_and_b64 exec, exec, vcc
	s_cbranch_execz .LBB63_20
; %bb.2:
	s_load_dwordx8 s[4:11], s[0:1], 0x30
	s_mov_b32 s24, 0
	s_brev_b32 s25, 8
	v_mov_b32_e32 v9, 0x260
	s_movk_i32 s31, 0x1f8
	s_waitcnt lgkmcnt(0)
	v_lshl_add_u64 v[4:5], s[4:5], 0, v[0:1]
	v_lshl_add_u64 v[0:1], s[6:7], 0, v[0:1]
	global_load_dword v6, v[0:1], off
	global_load_dword v7, v[4:5], off
	s_load_dwordx8 s[12:19], s[0:1], 0x50
	s_load_dwordx4 s[20:23], s[0:1], 0x18
	s_load_dword s30, s[0:1], 0x28
	s_mov_b64 s[4:5], 0
	v_mov_b32_e32 v22, 0x100
	v_mov_b32_e32 v26, 0xffffff80
	s_waitcnt lgkmcnt(0)
	v_subrev_u32_e32 v23, s30, v2
	v_subrev_u32_e32 v10, s30, v3
	s_waitcnt vmcnt(1)
	v_subrev_u32_e32 v24, s30, v6
	s_waitcnt vmcnt(0)
	v_cmp_lt_i32_e64 s[0:1], v7, v6
	v_subrev_u32_e32 v25, s30, v7
	s_branch .LBB63_4
.LBB63_3:                               ;   in Loop: Header=BB63_4 Depth=1
	s_or_b64 exec, exec, s[2:3]
	v_add_u32_e32 v10, 1, v10
	v_cmp_ge_i32_e32 vcc, v10, v23
	s_or_b64 s[4:5], vcc, s[4:5]
	s_andn2_b64 exec, exec, s[4:5]
	s_cbranch_execz .LBB63_20
.LBB63_4:                               ; =>This Loop Header: Depth=1
                                        ;     Child Loop BB63_7 Depth 2
	v_ashrrev_i32_e32 v11, 31, v10
	v_lshl_add_u64 v[0:1], v[10:11], 2, s[20:21]
	global_load_dword v0, v[0:1], off
	v_mov_b64_e32 v[16:17], 0
	s_waitcnt vmcnt(0)
	v_subrev_u32_e32 v12, s30, v0
	v_ashrrev_i32_e32 v13, 31, v12
	v_lshlrev_b64 v[4:5], 2, v[12:13]
	v_lshl_add_u64 v[0:1], s[6:7], 0, v[4:5]
	global_load_dword v14, v[0:1], off
	v_lshl_add_u64 v[6:7], s[12:13], 0, v[4:5]
	v_lshl_add_u64 v[4:5], s[10:11], 0, v[4:5]
	global_load_dword v18, v[4:5], off
	global_load_dword v13, v[6:7], off
	v_lshl_add_u64 v[0:1], v[10:11], 4, s[22:23]
	global_load_dwordx4 v[0:3], v[0:1], off
	s_waitcnt vmcnt(3)
	v_subrev_u32_e32 v4, s30, v14
	v_ashrrev_i32_e32 v5, 31, v4
	v_lshl_add_u64 v[4:5], v[4:5], 4, s[18:19]
	global_load_dwordx4 v[4:7], v[4:5], off
	s_waitcnt vmcnt(2)
	v_cmp_lt_i32_e32 vcc, v18, v13
	s_and_b64 s[2:3], s[0:1], vcc
	v_mov_b64_e32 v[14:15], 0
	s_and_saveexec_b64 s[26:27], s[2:3]
	s_cbranch_execz .LBB63_10
; %bb.5:                                ;   in Loop: Header=BB63_4 Depth=1
	v_subrev_u32_e32 v13, s30, v13
	v_subrev_u32_e32 v18, s30, v18
	v_mov_b64_e32 v[14:15], 0
	s_mov_b64 s[28:29], 0
	v_mov_b32_e32 v20, v25
	v_mov_b64_e32 v[16:17], 0
	s_branch .LBB63_7
.LBB63_6:                               ;   in Loop: Header=BB63_7 Depth=2
	s_or_b64 exec, exec, s[2:3]
	v_cmp_le_i32_e32 vcc, v27, v28
	s_nop 1
	v_addc_co_u32_e32 v20, vcc, 0, v20, vcc
	v_cmp_ge_i32_e32 vcc, v27, v28
	s_nop 1
	v_addc_co_u32_e32 v18, vcc, 0, v18, vcc
	v_cmp_ge_i32_e32 vcc, v20, v24
	v_cmp_ge_i32_e64 s[2:3], v18, v13
	s_or_b64 s[2:3], vcc, s[2:3]
	s_and_b64 s[2:3], exec, s[2:3]
	s_or_b64 s[28:29], s[2:3], s[28:29]
	s_andn2_b64 exec, exec, s[28:29]
	s_cbranch_execz .LBB63_9
.LBB63_7:                               ;   Parent Loop BB63_4 Depth=1
                                        ; =>  This Inner Loop Header: Depth=2
	v_ashrrev_i32_e32 v21, 31, v20
	v_lshl_add_u64 v[28:29], v[20:21], 2, s[8:9]
	v_ashrrev_i32_e32 v19, 31, v18
	global_load_dword v27, v[28:29], off
	v_lshl_add_u64 v[28:29], v[18:19], 2, s[14:15]
	global_load_dword v28, v[28:29], off
	s_waitcnt vmcnt(0)
	v_cmp_eq_u32_e32 vcc, v27, v28
	s_and_saveexec_b64 s[2:3], vcc
	s_cbranch_execz .LBB63_6
; %bb.8:                                ;   in Loop: Header=BB63_7 Depth=2
	v_lshl_add_u64 v[30:31], v[18:19], 2, s[16:17]
	global_load_dword v34, v[30:31], off
	v_lshl_add_u64 v[30:31], v[20:21], 4, s[18:19]
	global_load_dwordx4 v[30:33], v[30:31], off
	s_waitcnt vmcnt(1)
	v_ashrrev_i32_e32 v35, 31, v34
	v_lshl_add_u64 v[34:35], v[34:35], 4, s[18:19]
	global_load_dwordx4 v[34:37], v[34:35], off
	s_waitcnt vmcnt(0)
	v_fmac_f64_e32 v[14:15], v[30:31], v[34:35]
	v_fmac_f64_e32 v[16:17], v[32:33], v[34:35]
	v_fma_f64 v[14:15], -v[32:33], v[36:37], v[14:15]
	v_fmac_f64_e32 v[16:17], v[30:31], v[36:37]
	s_branch .LBB63_6
.LBB63_9:                               ;   in Loop: Header=BB63_4 Depth=1
	s_or_b64 exec, exec, s[28:29]
.LBB63_10:                              ;   in Loop: Header=BB63_4 Depth=1
	s_or_b64 exec, exec, s[26:27]
	s_waitcnt vmcnt(1)
	v_add_f64 v[0:1], v[0:1], -v[14:15]
	v_add_f64 v[2:3], v[2:3], -v[16:17]
	v_cmp_gt_i32_e32 vcc, v8, v12
	s_and_saveexec_b64 s[2:3], vcc
	s_cbranch_execz .LBB63_12
; %bb.11:                               ;   in Loop: Header=BB63_4 Depth=1
	s_waitcnt vmcnt(0)
	v_mul_f64 v[12:13], v[6:7], v[6:7]
	v_fmac_f64_e32 v[12:13], v[4:5], v[4:5]
	v_div_scale_f64 v[14:15], s[26:27], v[12:13], v[12:13], 1.0
	v_rcp_f64_e32 v[16:17], v[14:15]
	v_div_scale_f64 v[18:19], vcc, 1.0, v[12:13], 1.0
	v_fma_f64 v[20:21], -v[14:15], v[16:17], 1.0
	v_fmac_f64_e32 v[16:17], v[16:17], v[20:21]
	v_fma_f64 v[20:21], -v[14:15], v[16:17], 1.0
	v_fmac_f64_e32 v[16:17], v[16:17], v[20:21]
	v_mul_f64 v[20:21], v[18:19], v[16:17]
	v_fma_f64 v[14:15], -v[14:15], v[20:21], v[18:19]
	v_div_fmas_f64 v[14:15], v[14:15], v[16:17], v[20:21]
	v_div_fixup_f64 v[12:13], v[14:15], v[12:13], 1.0
	v_mul_f64 v[14:15], v[6:7], v[2:3]
	v_fmac_f64_e32 v[14:15], v[0:1], v[4:5]
	v_mul_f64 v[0:1], v[6:7], -v[0:1]
	v_mul_f64 v[14:15], v[12:13], v[14:15]
	v_fmac_f64_e32 v[0:1], v[2:3], v[4:5]
	v_mul_f64 v[2:3], v[12:13], v[0:1]
	v_mov_b64_e32 v[0:1], v[14:15]
.LBB63_12:                              ;   in Loop: Header=BB63_4 Depth=1
	s_or_b64 exec, exec, s[2:3]
	s_waitcnt vmcnt(0)
	v_xor_b32_e32 v4, 0x80000000, v1
	v_cmp_gt_f64_e32 vcc, 0, v[0:1]
	v_xor_b32_e32 v6, 0x80000000, v3
                                        ; implicit-def: $vgpr12_vgpr13
	s_nop 0
	v_cndmask_b32_e32 v5, v1, v4, vcc
	v_cmp_gt_f64_e32 vcc, 0, v[2:3]
	v_mov_b32_e32 v4, v0
	s_nop 0
	v_cndmask_b32_e32 v7, v3, v6, vcc
	v_mov_b32_e32 v6, v2
	v_cmp_ngt_f64_e32 vcc, v[4:5], v[6:7]
	s_and_saveexec_b64 s[2:3], vcc
	s_xor_b64 s[2:3], exec, s[2:3]
	s_cbranch_execnz .LBB63_15
; %bb.13:                               ;   in Loop: Header=BB63_4 Depth=1
	s_andn2_saveexec_b64 s[2:3], s[2:3]
	s_cbranch_execnz .LBB63_18
.LBB63_14:                              ;   in Loop: Header=BB63_4 Depth=1
	s_or_b64 exec, exec, s[2:3]
	v_cmp_class_f64_e64 s[26:27], v[12:13], s31
	s_and_saveexec_b64 s[2:3], s[26:27]
	s_cbranch_execz .LBB63_3
	s_branch .LBB63_19
.LBB63_15:                              ;   in Loop: Header=BB63_4 Depth=1
	v_mov_b64_e32 v[12:13], 0
	v_cmp_neq_f64_e32 vcc, 0, v[2:3]
	s_and_saveexec_b64 s[26:27], vcc
	s_cbranch_execz .LBB63_17
; %bb.16:                               ;   in Loop: Header=BB63_4 Depth=1
	v_div_scale_f64 v[12:13], s[28:29], v[6:7], v[6:7], v[4:5]
	v_rcp_f64_e32 v[14:15], v[12:13]
	v_div_scale_f64 v[16:17], vcc, v[4:5], v[6:7], v[4:5]
	v_fma_f64 v[18:19], -v[12:13], v[14:15], 1.0
	v_fmac_f64_e32 v[14:15], v[14:15], v[18:19]
	v_fma_f64 v[18:19], -v[12:13], v[14:15], 1.0
	v_fmac_f64_e32 v[14:15], v[14:15], v[18:19]
	v_mul_f64 v[18:19], v[16:17], v[14:15]
	v_fma_f64 v[12:13], -v[12:13], v[18:19], v[16:17]
	v_div_fmas_f64 v[12:13], v[12:13], v[14:15], v[18:19]
	v_div_fixup_f64 v[4:5], v[12:13], v[6:7], v[4:5]
	v_fma_f64 v[4:5], v[4:5], v[4:5], 1.0
	v_cmp_gt_f64_e32 vcc, s[24:25], v[4:5]
	s_nop 1
	v_cndmask_b32_e32 v12, 0, v22, vcc
	v_ldexp_f64 v[4:5], v[4:5], v12
	v_rsq_f64_e32 v[12:13], v[4:5]
	s_nop 0
	v_mul_f64 v[14:15], v[4:5], v[12:13]
	v_mul_f64 v[12:13], v[12:13], 0.5
	v_fma_f64 v[16:17], -v[12:13], v[14:15], 0.5
	v_fmac_f64_e32 v[14:15], v[14:15], v[16:17]
	v_fma_f64 v[18:19], -v[14:15], v[14:15], v[4:5]
	v_fmac_f64_e32 v[12:13], v[12:13], v[16:17]
	v_fmac_f64_e32 v[14:15], v[18:19], v[12:13]
	v_fma_f64 v[16:17], -v[14:15], v[14:15], v[4:5]
	v_fmac_f64_e32 v[14:15], v[16:17], v[12:13]
	v_cndmask_b32_e32 v12, 0, v26, vcc
	v_ldexp_f64 v[12:13], v[14:15], v12
	v_cmp_class_f64_e32 vcc, v[4:5], v9
	s_nop 1
	v_cndmask_b32_e32 v5, v13, v5, vcc
	v_cndmask_b32_e32 v4, v12, v4, vcc
	v_mul_f64 v[12:13], v[6:7], v[4:5]
.LBB63_17:                              ;   in Loop: Header=BB63_4 Depth=1
	s_or_b64 exec, exec, s[26:27]
                                        ; implicit-def: $vgpr4_vgpr5
                                        ; implicit-def: $vgpr6_vgpr7
	s_andn2_saveexec_b64 s[2:3], s[2:3]
	s_cbranch_execz .LBB63_14
.LBB63_18:                              ;   in Loop: Header=BB63_4 Depth=1
	v_div_scale_f64 v[12:13], s[26:27], v[4:5], v[4:5], v[6:7]
	v_rcp_f64_e32 v[14:15], v[12:13]
	v_div_scale_f64 v[16:17], vcc, v[6:7], v[4:5], v[6:7]
	v_fma_f64 v[18:19], -v[12:13], v[14:15], 1.0
	v_fmac_f64_e32 v[14:15], v[14:15], v[18:19]
	v_fma_f64 v[18:19], -v[12:13], v[14:15], 1.0
	v_fmac_f64_e32 v[14:15], v[14:15], v[18:19]
	v_mul_f64 v[18:19], v[16:17], v[14:15]
	v_fma_f64 v[12:13], -v[12:13], v[18:19], v[16:17]
	v_div_fmas_f64 v[12:13], v[12:13], v[14:15], v[18:19]
	v_div_fixup_f64 v[6:7], v[12:13], v[4:5], v[6:7]
	v_fma_f64 v[6:7], v[6:7], v[6:7], 1.0
	v_cmp_gt_f64_e32 vcc, s[24:25], v[6:7]
	s_nop 1
	v_cndmask_b32_e32 v12, 0, v22, vcc
	v_ldexp_f64 v[6:7], v[6:7], v12
	v_rsq_f64_e32 v[12:13], v[6:7]
	s_nop 0
	v_mul_f64 v[14:15], v[6:7], v[12:13]
	v_mul_f64 v[12:13], v[12:13], 0.5
	v_fma_f64 v[16:17], -v[12:13], v[14:15], 0.5
	v_fmac_f64_e32 v[14:15], v[14:15], v[16:17]
	v_fma_f64 v[18:19], -v[14:15], v[14:15], v[6:7]
	v_fmac_f64_e32 v[12:13], v[12:13], v[16:17]
	v_fmac_f64_e32 v[14:15], v[18:19], v[12:13]
	v_fma_f64 v[16:17], -v[14:15], v[14:15], v[6:7]
	v_fmac_f64_e32 v[14:15], v[16:17], v[12:13]
	v_cndmask_b32_e32 v12, 0, v26, vcc
	v_ldexp_f64 v[12:13], v[14:15], v12
	v_cmp_class_f64_e32 vcc, v[6:7], v9
	s_nop 1
	v_cndmask_b32_e32 v7, v13, v7, vcc
	v_cndmask_b32_e32 v6, v12, v6, vcc
	v_mul_f64 v[12:13], v[4:5], v[6:7]
	s_or_b64 exec, exec, s[2:3]
	v_cmp_class_f64_e64 s[26:27], v[12:13], s31
	s_and_saveexec_b64 s[2:3], s[26:27]
	s_cbranch_execz .LBB63_3
.LBB63_19:                              ;   in Loop: Header=BB63_4 Depth=1
	v_lshl_add_u64 v[4:5], v[10:11], 4, s[18:19]
	global_store_dwordx4 v[4:5], v[0:3], off
	s_branch .LBB63_3
.LBB63_20:
	s_endpgm
	.section	.rodata,"a",@progbits
	.p2align	6, 0x0
	.amdhsa_kernel _ZN9rocsparseL16kernel_calculateILi1024ELi1ELb0E21rocsparse_complex_numIdEiiEEvT4_T3_PKS4_S6_PKS3_PKT2_21rocsparse_index_base_S6_S6_S8_S6_S6_S8_S6_PS9_PNS_15floating_traitsIS9_E6data_tEPKSG_
		.amdhsa_group_segment_fixed_size 0
		.amdhsa_private_segment_fixed_size 0
		.amdhsa_kernarg_size 128
		.amdhsa_user_sgpr_count 2
		.amdhsa_user_sgpr_dispatch_ptr 0
		.amdhsa_user_sgpr_queue_ptr 0
		.amdhsa_user_sgpr_kernarg_segment_ptr 1
		.amdhsa_user_sgpr_dispatch_id 0
		.amdhsa_user_sgpr_kernarg_preload_length 0
		.amdhsa_user_sgpr_kernarg_preload_offset 0
		.amdhsa_user_sgpr_private_segment_size 0
		.amdhsa_uses_dynamic_stack 0
		.amdhsa_enable_private_segment 0
		.amdhsa_system_sgpr_workgroup_id_x 1
		.amdhsa_system_sgpr_workgroup_id_y 0
		.amdhsa_system_sgpr_workgroup_id_z 0
		.amdhsa_system_sgpr_workgroup_info 0
		.amdhsa_system_vgpr_workitem_id 0
		.amdhsa_next_free_vgpr 38
		.amdhsa_next_free_sgpr 32
		.amdhsa_accum_offset 40
		.amdhsa_reserve_vcc 1
		.amdhsa_float_round_mode_32 0
		.amdhsa_float_round_mode_16_64 0
		.amdhsa_float_denorm_mode_32 3
		.amdhsa_float_denorm_mode_16_64 3
		.amdhsa_dx10_clamp 1
		.amdhsa_ieee_mode 1
		.amdhsa_fp16_overflow 0
		.amdhsa_tg_split 0
		.amdhsa_exception_fp_ieee_invalid_op 0
		.amdhsa_exception_fp_denorm_src 0
		.amdhsa_exception_fp_ieee_div_zero 0
		.amdhsa_exception_fp_ieee_overflow 0
		.amdhsa_exception_fp_ieee_underflow 0
		.amdhsa_exception_fp_ieee_inexact 0
		.amdhsa_exception_int_div_zero 0
	.end_amdhsa_kernel
	.section	.text._ZN9rocsparseL16kernel_calculateILi1024ELi1ELb0E21rocsparse_complex_numIdEiiEEvT4_T3_PKS4_S6_PKS3_PKT2_21rocsparse_index_base_S6_S6_S8_S6_S6_S8_S6_PS9_PNS_15floating_traitsIS9_E6data_tEPKSG_,"axG",@progbits,_ZN9rocsparseL16kernel_calculateILi1024ELi1ELb0E21rocsparse_complex_numIdEiiEEvT4_T3_PKS4_S6_PKS3_PKT2_21rocsparse_index_base_S6_S6_S8_S6_S6_S8_S6_PS9_PNS_15floating_traitsIS9_E6data_tEPKSG_,comdat
.Lfunc_end63:
	.size	_ZN9rocsparseL16kernel_calculateILi1024ELi1ELb0E21rocsparse_complex_numIdEiiEEvT4_T3_PKS4_S6_PKS3_PKT2_21rocsparse_index_base_S6_S6_S8_S6_S6_S8_S6_PS9_PNS_15floating_traitsIS9_E6data_tEPKSG_, .Lfunc_end63-_ZN9rocsparseL16kernel_calculateILi1024ELi1ELb0E21rocsparse_complex_numIdEiiEEvT4_T3_PKS4_S6_PKS3_PKT2_21rocsparse_index_base_S6_S6_S8_S6_S6_S8_S6_PS9_PNS_15floating_traitsIS9_E6data_tEPKSG_
                                        ; -- End function
	.set _ZN9rocsparseL16kernel_calculateILi1024ELi1ELb0E21rocsparse_complex_numIdEiiEEvT4_T3_PKS4_S6_PKS3_PKT2_21rocsparse_index_base_S6_S6_S8_S6_S6_S8_S6_PS9_PNS_15floating_traitsIS9_E6data_tEPKSG_.num_vgpr, 38
	.set _ZN9rocsparseL16kernel_calculateILi1024ELi1ELb0E21rocsparse_complex_numIdEiiEEvT4_T3_PKS4_S6_PKS3_PKT2_21rocsparse_index_base_S6_S6_S8_S6_S6_S8_S6_PS9_PNS_15floating_traitsIS9_E6data_tEPKSG_.num_agpr, 0
	.set _ZN9rocsparseL16kernel_calculateILi1024ELi1ELb0E21rocsparse_complex_numIdEiiEEvT4_T3_PKS4_S6_PKS3_PKT2_21rocsparse_index_base_S6_S6_S8_S6_S6_S8_S6_PS9_PNS_15floating_traitsIS9_E6data_tEPKSG_.numbered_sgpr, 32
	.set _ZN9rocsparseL16kernel_calculateILi1024ELi1ELb0E21rocsparse_complex_numIdEiiEEvT4_T3_PKS4_S6_PKS3_PKT2_21rocsparse_index_base_S6_S6_S8_S6_S6_S8_S6_PS9_PNS_15floating_traitsIS9_E6data_tEPKSG_.num_named_barrier, 0
	.set _ZN9rocsparseL16kernel_calculateILi1024ELi1ELb0E21rocsparse_complex_numIdEiiEEvT4_T3_PKS4_S6_PKS3_PKT2_21rocsparse_index_base_S6_S6_S8_S6_S6_S8_S6_PS9_PNS_15floating_traitsIS9_E6data_tEPKSG_.private_seg_size, 0
	.set _ZN9rocsparseL16kernel_calculateILi1024ELi1ELb0E21rocsparse_complex_numIdEiiEEvT4_T3_PKS4_S6_PKS3_PKT2_21rocsparse_index_base_S6_S6_S8_S6_S6_S8_S6_PS9_PNS_15floating_traitsIS9_E6data_tEPKSG_.uses_vcc, 1
	.set _ZN9rocsparseL16kernel_calculateILi1024ELi1ELb0E21rocsparse_complex_numIdEiiEEvT4_T3_PKS4_S6_PKS3_PKT2_21rocsparse_index_base_S6_S6_S8_S6_S6_S8_S6_PS9_PNS_15floating_traitsIS9_E6data_tEPKSG_.uses_flat_scratch, 0
	.set _ZN9rocsparseL16kernel_calculateILi1024ELi1ELb0E21rocsparse_complex_numIdEiiEEvT4_T3_PKS4_S6_PKS3_PKT2_21rocsparse_index_base_S6_S6_S8_S6_S6_S8_S6_PS9_PNS_15floating_traitsIS9_E6data_tEPKSG_.has_dyn_sized_stack, 0
	.set _ZN9rocsparseL16kernel_calculateILi1024ELi1ELb0E21rocsparse_complex_numIdEiiEEvT4_T3_PKS4_S6_PKS3_PKT2_21rocsparse_index_base_S6_S6_S8_S6_S6_S8_S6_PS9_PNS_15floating_traitsIS9_E6data_tEPKSG_.has_recursion, 0
	.set _ZN9rocsparseL16kernel_calculateILi1024ELi1ELb0E21rocsparse_complex_numIdEiiEEvT4_T3_PKS4_S6_PKS3_PKT2_21rocsparse_index_base_S6_S6_S8_S6_S6_S8_S6_PS9_PNS_15floating_traitsIS9_E6data_tEPKSG_.has_indirect_call, 0
	.section	.AMDGPU.csdata,"",@progbits
; Kernel info:
; codeLenInByte = 1424
; TotalNumSgprs: 38
; NumVgprs: 38
; NumAgprs: 0
; TotalNumVgprs: 38
; ScratchSize: 0
; MemoryBound: 1
; FloatMode: 240
; IeeeMode: 1
; LDSByteSize: 0 bytes/workgroup (compile time only)
; SGPRBlocks: 4
; VGPRBlocks: 4
; NumSGPRsForWavesPerEU: 38
; NumVGPRsForWavesPerEU: 38
; AccumOffset: 40
; Occupancy: 8
; WaveLimiterHint : 1
; COMPUTE_PGM_RSRC2:SCRATCH_EN: 0
; COMPUTE_PGM_RSRC2:USER_SGPR: 2
; COMPUTE_PGM_RSRC2:TRAP_HANDLER: 0
; COMPUTE_PGM_RSRC2:TGID_X_EN: 1
; COMPUTE_PGM_RSRC2:TGID_Y_EN: 0
; COMPUTE_PGM_RSRC2:TGID_Z_EN: 0
; COMPUTE_PGM_RSRC2:TIDIG_COMP_CNT: 0
; COMPUTE_PGM_RSRC3_GFX90A:ACCUM_OFFSET: 9
; COMPUTE_PGM_RSRC3_GFX90A:TG_SPLIT: 0
	.section	.text._ZN9rocsparseL16kernel_calculateILi1024ELi2ELb0E21rocsparse_complex_numIdEiiEEvT4_T3_PKS4_S6_PKS3_PKT2_21rocsparse_index_base_S6_S6_S8_S6_S6_S8_S6_PS9_PNS_15floating_traitsIS9_E6data_tEPKSG_,"axG",@progbits,_ZN9rocsparseL16kernel_calculateILi1024ELi2ELb0E21rocsparse_complex_numIdEiiEEvT4_T3_PKS4_S6_PKS3_PKT2_21rocsparse_index_base_S6_S6_S8_S6_S6_S8_S6_PS9_PNS_15floating_traitsIS9_E6data_tEPKSG_,comdat
	.globl	_ZN9rocsparseL16kernel_calculateILi1024ELi2ELb0E21rocsparse_complex_numIdEiiEEvT4_T3_PKS4_S6_PKS3_PKT2_21rocsparse_index_base_S6_S6_S8_S6_S6_S8_S6_PS9_PNS_15floating_traitsIS9_E6data_tEPKSG_ ; -- Begin function _ZN9rocsparseL16kernel_calculateILi1024ELi2ELb0E21rocsparse_complex_numIdEiiEEvT4_T3_PKS4_S6_PKS3_PKT2_21rocsparse_index_base_S6_S6_S8_S6_S6_S8_S6_PS9_PNS_15floating_traitsIS9_E6data_tEPKSG_
	.p2align	8
	.type	_ZN9rocsparseL16kernel_calculateILi1024ELi2ELb0E21rocsparse_complex_numIdEiiEEvT4_T3_PKS4_S6_PKS3_PKT2_21rocsparse_index_base_S6_S6_S8_S6_S6_S8_S6_PS9_PNS_15floating_traitsIS9_E6data_tEPKSG_,@function
_ZN9rocsparseL16kernel_calculateILi1024ELi2ELb0E21rocsparse_complex_numIdEiiEEvT4_T3_PKS4_S6_PKS3_PKT2_21rocsparse_index_base_S6_S6_S8_S6_S6_S8_S6_PS9_PNS_15floating_traitsIS9_E6data_tEPKSG_: ; @_ZN9rocsparseL16kernel_calculateILi1024ELi2ELb0E21rocsparse_complex_numIdEiiEEvT4_T3_PKS4_S6_PKS3_PKT2_21rocsparse_index_base_S6_S6_S8_S6_S6_S8_S6_PS9_PNS_15floating_traitsIS9_E6data_tEPKSG_
; %bb.0:
	s_load_dword s36, s[0:1], 0x0
	v_lshrrev_b32_e32 v1, 1, v0
	v_lshl_or_b32 v10, s2, 10, v1
	s_waitcnt lgkmcnt(0)
	v_cmp_gt_i32_e32 vcc, s36, v10
	s_and_saveexec_b64 s[2:3], vcc
	s_cbranch_execz .LBB64_40
; %bb.1:
	s_load_dwordx8 s[4:11], s[0:1], 0x8
	v_ashrrev_i32_e32 v11, 31, v10
	v_lshlrev_b64 v[8:9], 2, v[10:11]
	v_and_b32_e32 v0, 1, v0
	s_waitcnt lgkmcnt(0)
	v_lshl_add_u64 v[12:13], s[6:7], 0, v[8:9]
	v_lshl_add_u64 v[14:15], s[4:5], 0, v[8:9]
	global_load_dword v1, v[12:13], off
	global_load_dword v2, v[14:15], off
	s_load_dword s33, s[0:1], 0x28
	s_load_dwordx8 s[12:19], s[0:1], 0x50
	s_load_dwordx8 s[20:27], s[0:1], 0x30
	s_waitcnt lgkmcnt(0)
	v_subrev_u32_e32 v11, s33, v0
	s_waitcnt vmcnt(1)
	v_subrev_u32_e32 v28, s33, v1
	s_waitcnt vmcnt(0)
	v_add_u32_e32 v16, v11, v2
	v_cmp_lt_i32_e32 vcc, v16, v28
	s_and_saveexec_b64 s[4:5], vcc
	s_cbranch_execz .LBB64_20
; %bb.2:
	v_lshl_add_u64 v[0:1], s[22:23], 0, v[8:9]
	global_load_dword v2, v[0:1], off
	v_lshl_add_u64 v[0:1], s[20:21], 0, v[8:9]
	global_load_dword v0, v[0:1], off
	s_mov_b32 s28, 0
	s_mov_b64 s[6:7], 0
	s_brev_b32 s29, 8
	v_mov_b32_e32 v29, 0x260
	s_movk_i32 s37, 0x1f8
	v_mov_b32_e32 v30, 0x100
	v_mov_b32_e32 v33, 0xffffff80
	s_waitcnt vmcnt(1)
	v_subrev_u32_e32 v31, s33, v2
	s_waitcnt vmcnt(0)
	v_cmp_lt_i32_e64 s[0:1], v0, v2
	v_subrev_u32_e32 v32, s33, v0
	s_branch .LBB64_4
.LBB64_3:                               ;   in Loop: Header=BB64_4 Depth=1
	s_or_b64 exec, exec, s[2:3]
	v_add_u32_e32 v16, 2, v16
	v_cmp_ge_i32_e32 vcc, v16, v28
	s_or_b64 s[6:7], vcc, s[6:7]
	s_andn2_b64 exec, exec, s[6:7]
	s_cbranch_execz .LBB64_20
.LBB64_4:                               ; =>This Loop Header: Depth=1
                                        ;     Child Loop BB64_7 Depth 2
	v_ashrrev_i32_e32 v17, 31, v16
	v_lshl_add_u64 v[0:1], v[16:17], 2, s[8:9]
	global_load_dword v0, v[0:1], off
	v_mov_b64_e32 v[22:23], 0
	s_waitcnt vmcnt(0)
	v_subrev_u32_e32 v18, s33, v0
	v_ashrrev_i32_e32 v19, 31, v18
	v_lshlrev_b64 v[4:5], 2, v[18:19]
	v_lshl_add_u64 v[0:1], s[22:23], 0, v[4:5]
	global_load_dword v20, v[0:1], off
	v_lshl_add_u64 v[6:7], s[12:13], 0, v[4:5]
	v_lshl_add_u64 v[4:5], s[26:27], 0, v[4:5]
	global_load_dword v24, v[4:5], off
	global_load_dword v19, v[6:7], off
	v_lshl_add_u64 v[0:1], v[16:17], 4, s[10:11]
	global_load_dwordx4 v[0:3], v[0:1], off
	s_waitcnt vmcnt(3)
	v_subrev_u32_e32 v4, s33, v20
	v_ashrrev_i32_e32 v5, 31, v4
	v_lshl_add_u64 v[4:5], v[4:5], 4, s[18:19]
	global_load_dwordx4 v[4:7], v[4:5], off
	s_waitcnt vmcnt(2)
	v_cmp_lt_i32_e32 vcc, v24, v19
	s_and_b64 s[2:3], s[0:1], vcc
	v_mov_b64_e32 v[20:21], 0
	s_and_saveexec_b64 s[30:31], s[2:3]
	s_cbranch_execz .LBB64_10
; %bb.5:                                ;   in Loop: Header=BB64_4 Depth=1
	v_subrev_u32_e32 v19, s33, v19
	v_subrev_u32_e32 v24, s33, v24
	v_mov_b64_e32 v[20:21], 0
	s_mov_b64 s[34:35], 0
	v_mov_b32_e32 v26, v32
	v_mov_b64_e32 v[22:23], 0
	s_branch .LBB64_7
.LBB64_6:                               ;   in Loop: Header=BB64_7 Depth=2
	s_or_b64 exec, exec, s[2:3]
	v_cmp_le_i32_e32 vcc, v34, v35
	s_nop 1
	v_addc_co_u32_e32 v26, vcc, 0, v26, vcc
	v_cmp_ge_i32_e32 vcc, v34, v35
	s_nop 1
	v_addc_co_u32_e32 v24, vcc, 0, v24, vcc
	v_cmp_ge_i32_e32 vcc, v26, v31
	v_cmp_ge_i32_e64 s[2:3], v24, v19
	s_or_b64 s[2:3], vcc, s[2:3]
	s_and_b64 s[2:3], exec, s[2:3]
	s_or_b64 s[34:35], s[2:3], s[34:35]
	s_andn2_b64 exec, exec, s[34:35]
	s_cbranch_execz .LBB64_9
.LBB64_7:                               ;   Parent Loop BB64_4 Depth=1
                                        ; =>  This Inner Loop Header: Depth=2
	v_ashrrev_i32_e32 v27, 31, v26
	v_ashrrev_i32_e32 v25, 31, v24
	v_lshl_add_u64 v[34:35], v[26:27], 2, s[24:25]
	v_lshl_add_u64 v[36:37], v[24:25], 2, s[14:15]
	global_load_dword v34, v[34:35], off
	s_nop 0
	global_load_dword v35, v[36:37], off
	s_waitcnt vmcnt(0)
	v_cmp_eq_u32_e32 vcc, v34, v35
	s_and_saveexec_b64 s[2:3], vcc
	s_cbranch_execz .LBB64_6
; %bb.8:                                ;   in Loop: Header=BB64_7 Depth=2
	v_lshl_add_u64 v[36:37], v[24:25], 2, s[16:17]
	global_load_dword v40, v[36:37], off
	v_lshl_add_u64 v[36:37], v[26:27], 4, s[18:19]
	global_load_dwordx4 v[36:39], v[36:37], off
	s_waitcnt vmcnt(1)
	v_ashrrev_i32_e32 v41, 31, v40
	v_lshl_add_u64 v[40:41], v[40:41], 4, s[18:19]
	global_load_dwordx4 v[40:43], v[40:41], off
	s_waitcnt vmcnt(0)
	v_fmac_f64_e32 v[20:21], v[36:37], v[40:41]
	v_fmac_f64_e32 v[22:23], v[38:39], v[40:41]
	v_fma_f64 v[20:21], -v[38:39], v[42:43], v[20:21]
	v_fmac_f64_e32 v[22:23], v[36:37], v[42:43]
	s_branch .LBB64_6
.LBB64_9:                               ;   in Loop: Header=BB64_4 Depth=1
	s_or_b64 exec, exec, s[34:35]
.LBB64_10:                              ;   in Loop: Header=BB64_4 Depth=1
	s_or_b64 exec, exec, s[30:31]
	s_waitcnt vmcnt(1)
	v_add_f64 v[0:1], v[0:1], -v[20:21]
	v_add_f64 v[2:3], v[2:3], -v[22:23]
	v_cmp_gt_i32_e32 vcc, v10, v18
	s_and_saveexec_b64 s[2:3], vcc
	s_cbranch_execz .LBB64_12
; %bb.11:                               ;   in Loop: Header=BB64_4 Depth=1
	s_waitcnt vmcnt(0)
	v_mul_f64 v[18:19], v[6:7], v[6:7]
	v_fmac_f64_e32 v[18:19], v[4:5], v[4:5]
	v_div_scale_f64 v[20:21], s[30:31], v[18:19], v[18:19], 1.0
	v_rcp_f64_e32 v[22:23], v[20:21]
	v_div_scale_f64 v[24:25], vcc, 1.0, v[18:19], 1.0
	v_fma_f64 v[26:27], -v[20:21], v[22:23], 1.0
	v_fmac_f64_e32 v[22:23], v[22:23], v[26:27]
	v_fma_f64 v[26:27], -v[20:21], v[22:23], 1.0
	v_fmac_f64_e32 v[22:23], v[22:23], v[26:27]
	v_mul_f64 v[26:27], v[24:25], v[22:23]
	v_fma_f64 v[20:21], -v[20:21], v[26:27], v[24:25]
	v_div_fmas_f64 v[20:21], v[20:21], v[22:23], v[26:27]
	v_div_fixup_f64 v[18:19], v[20:21], v[18:19], 1.0
	v_mul_f64 v[20:21], v[6:7], v[2:3]
	v_fmac_f64_e32 v[20:21], v[0:1], v[4:5]
	v_mul_f64 v[0:1], v[6:7], -v[0:1]
	v_mul_f64 v[20:21], v[18:19], v[20:21]
	v_fmac_f64_e32 v[0:1], v[2:3], v[4:5]
	v_mul_f64 v[2:3], v[18:19], v[0:1]
	v_mov_b64_e32 v[0:1], v[20:21]
.LBB64_12:                              ;   in Loop: Header=BB64_4 Depth=1
	s_or_b64 exec, exec, s[2:3]
	s_waitcnt vmcnt(0)
	v_xor_b32_e32 v4, 0x80000000, v1
	v_cmp_gt_f64_e32 vcc, 0, v[0:1]
	v_xor_b32_e32 v6, 0x80000000, v3
                                        ; implicit-def: $vgpr18_vgpr19
	s_nop 0
	v_cndmask_b32_e32 v5, v1, v4, vcc
	v_cmp_gt_f64_e32 vcc, 0, v[2:3]
	v_mov_b32_e32 v4, v0
	s_nop 0
	v_cndmask_b32_e32 v7, v3, v6, vcc
	v_mov_b32_e32 v6, v2
	v_cmp_ngt_f64_e32 vcc, v[4:5], v[6:7]
	s_and_saveexec_b64 s[2:3], vcc
	s_xor_b64 s[2:3], exec, s[2:3]
	s_cbranch_execnz .LBB64_15
; %bb.13:                               ;   in Loop: Header=BB64_4 Depth=1
	s_andn2_saveexec_b64 s[2:3], s[2:3]
	s_cbranch_execnz .LBB64_18
.LBB64_14:                              ;   in Loop: Header=BB64_4 Depth=1
	s_or_b64 exec, exec, s[2:3]
	v_cmp_class_f64_e64 s[30:31], v[18:19], s37
	s_and_saveexec_b64 s[2:3], s[30:31]
	s_cbranch_execz .LBB64_3
	s_branch .LBB64_19
.LBB64_15:                              ;   in Loop: Header=BB64_4 Depth=1
	v_mov_b64_e32 v[18:19], 0
	v_cmp_neq_f64_e32 vcc, 0, v[2:3]
	s_and_saveexec_b64 s[30:31], vcc
	s_cbranch_execz .LBB64_17
; %bb.16:                               ;   in Loop: Header=BB64_4 Depth=1
	v_div_scale_f64 v[18:19], s[34:35], v[6:7], v[6:7], v[4:5]
	v_rcp_f64_e32 v[20:21], v[18:19]
	v_div_scale_f64 v[22:23], vcc, v[4:5], v[6:7], v[4:5]
	v_fma_f64 v[24:25], -v[18:19], v[20:21], 1.0
	v_fmac_f64_e32 v[20:21], v[20:21], v[24:25]
	v_fma_f64 v[24:25], -v[18:19], v[20:21], 1.0
	v_fmac_f64_e32 v[20:21], v[20:21], v[24:25]
	v_mul_f64 v[24:25], v[22:23], v[20:21]
	v_fma_f64 v[18:19], -v[18:19], v[24:25], v[22:23]
	v_div_fmas_f64 v[18:19], v[18:19], v[20:21], v[24:25]
	v_div_fixup_f64 v[4:5], v[18:19], v[6:7], v[4:5]
	v_fma_f64 v[4:5], v[4:5], v[4:5], 1.0
	v_cmp_gt_f64_e32 vcc, s[28:29], v[4:5]
	s_nop 1
	v_cndmask_b32_e32 v18, 0, v30, vcc
	v_ldexp_f64 v[4:5], v[4:5], v18
	v_rsq_f64_e32 v[18:19], v[4:5]
	s_nop 0
	v_mul_f64 v[20:21], v[4:5], v[18:19]
	v_mul_f64 v[18:19], v[18:19], 0.5
	v_fma_f64 v[22:23], -v[18:19], v[20:21], 0.5
	v_fmac_f64_e32 v[20:21], v[20:21], v[22:23]
	v_fma_f64 v[24:25], -v[20:21], v[20:21], v[4:5]
	v_fmac_f64_e32 v[18:19], v[18:19], v[22:23]
	v_fmac_f64_e32 v[20:21], v[24:25], v[18:19]
	v_fma_f64 v[22:23], -v[20:21], v[20:21], v[4:5]
	v_fmac_f64_e32 v[20:21], v[22:23], v[18:19]
	v_cndmask_b32_e32 v18, 0, v33, vcc
	v_ldexp_f64 v[18:19], v[20:21], v18
	v_cmp_class_f64_e32 vcc, v[4:5], v29
	s_nop 1
	v_cndmask_b32_e32 v5, v19, v5, vcc
	v_cndmask_b32_e32 v4, v18, v4, vcc
	v_mul_f64 v[18:19], v[6:7], v[4:5]
.LBB64_17:                              ;   in Loop: Header=BB64_4 Depth=1
	s_or_b64 exec, exec, s[30:31]
                                        ; implicit-def: $vgpr4_vgpr5
                                        ; implicit-def: $vgpr6_vgpr7
	s_andn2_saveexec_b64 s[2:3], s[2:3]
	s_cbranch_execz .LBB64_14
.LBB64_18:                              ;   in Loop: Header=BB64_4 Depth=1
	v_div_scale_f64 v[18:19], s[30:31], v[4:5], v[4:5], v[6:7]
	v_rcp_f64_e32 v[20:21], v[18:19]
	v_div_scale_f64 v[22:23], vcc, v[6:7], v[4:5], v[6:7]
	v_fma_f64 v[24:25], -v[18:19], v[20:21], 1.0
	v_fmac_f64_e32 v[20:21], v[20:21], v[24:25]
	v_fma_f64 v[24:25], -v[18:19], v[20:21], 1.0
	v_fmac_f64_e32 v[20:21], v[20:21], v[24:25]
	v_mul_f64 v[24:25], v[22:23], v[20:21]
	v_fma_f64 v[18:19], -v[18:19], v[24:25], v[22:23]
	v_div_fmas_f64 v[18:19], v[18:19], v[20:21], v[24:25]
	v_div_fixup_f64 v[6:7], v[18:19], v[4:5], v[6:7]
	v_fma_f64 v[6:7], v[6:7], v[6:7], 1.0
	v_cmp_gt_f64_e32 vcc, s[28:29], v[6:7]
	s_nop 1
	v_cndmask_b32_e32 v18, 0, v30, vcc
	v_ldexp_f64 v[6:7], v[6:7], v18
	v_rsq_f64_e32 v[18:19], v[6:7]
	s_nop 0
	v_mul_f64 v[20:21], v[6:7], v[18:19]
	v_mul_f64 v[18:19], v[18:19], 0.5
	v_fma_f64 v[22:23], -v[18:19], v[20:21], 0.5
	v_fmac_f64_e32 v[20:21], v[20:21], v[22:23]
	v_fma_f64 v[24:25], -v[20:21], v[20:21], v[6:7]
	v_fmac_f64_e32 v[18:19], v[18:19], v[22:23]
	v_fmac_f64_e32 v[20:21], v[24:25], v[18:19]
	v_fma_f64 v[22:23], -v[20:21], v[20:21], v[6:7]
	v_fmac_f64_e32 v[20:21], v[22:23], v[18:19]
	v_cndmask_b32_e32 v18, 0, v33, vcc
	v_ldexp_f64 v[18:19], v[20:21], v18
	v_cmp_class_f64_e32 vcc, v[6:7], v29
	s_nop 1
	v_cndmask_b32_e32 v7, v19, v7, vcc
	v_cndmask_b32_e32 v6, v18, v6, vcc
	v_mul_f64 v[18:19], v[4:5], v[6:7]
	s_or_b64 exec, exec, s[2:3]
	v_cmp_class_f64_e64 s[30:31], v[18:19], s37
	s_and_saveexec_b64 s[2:3], s[30:31]
	s_cbranch_execz .LBB64_3
.LBB64_19:                              ;   in Loop: Header=BB64_4 Depth=1
	v_lshl_add_u64 v[4:5], v[16:17], 4, s[18:19]
	global_store_dwordx4 v[4:5], v[0:3], off
	s_branch .LBB64_3
.LBB64_20:
	s_or_b64 exec, exec, s[4:5]
	v_or_b32_e32 v20, 0x200, v10
	v_cmp_gt_i32_e32 vcc, s36, v20
	s_and_b64 exec, exec, vcc
	s_cbranch_execz .LBB64_40
; %bb.21:
	global_load_dword v0, v[12:13], off offset:2048
	global_load_dword v1, v[14:15], off offset:2048
	s_waitcnt vmcnt(1)
	v_subrev_u32_e32 v21, s33, v0
	s_waitcnt vmcnt(0)
	v_add_u32_e32 v10, v11, v1
	v_cmp_lt_i32_e32 vcc, v10, v21
	s_and_b64 exec, exec, vcc
	s_cbranch_execz .LBB64_40
; %bb.22:
	v_lshl_add_u64 v[0:1], s[22:23], 0, v[8:9]
	global_load_dword v2, v[0:1], off offset:2048
	v_lshl_add_u64 v[0:1], s[20:21], 0, v[8:9]
	global_load_dword v0, v[0:1], off offset:2048
	s_mov_b32 s6, 0
	s_mov_b64 s[4:5], 0
	s_brev_b32 s7, 8
	v_mov_b32_e32 v22, 0x260
	s_movk_i32 s30, 0x1f8
	v_mov_b32_e32 v23, 0x100
	v_mov_b32_e32 v26, 0xffffff80
	s_waitcnt vmcnt(1)
	v_subrev_u32_e32 v24, s33, v2
	s_waitcnt vmcnt(0)
	v_cmp_lt_i32_e64 s[0:1], v0, v2
	v_subrev_u32_e32 v25, s33, v0
	s_branch .LBB64_24
.LBB64_23:                              ;   in Loop: Header=BB64_24 Depth=1
	s_or_b64 exec, exec, s[2:3]
	v_add_u32_e32 v10, 2, v10
	v_cmp_ge_i32_e32 vcc, v10, v21
	s_or_b64 s[4:5], vcc, s[4:5]
	s_andn2_b64 exec, exec, s[4:5]
	s_cbranch_execz .LBB64_40
.LBB64_24:                              ; =>This Loop Header: Depth=1
                                        ;     Child Loop BB64_27 Depth 2
	v_ashrrev_i32_e32 v11, 31, v10
	v_lshl_add_u64 v[0:1], v[10:11], 2, s[8:9]
	global_load_dword v0, v[0:1], off
	v_mov_b64_e32 v[14:15], 0
	s_waitcnt vmcnt(0)
	v_subrev_u32_e32 v8, s33, v0
	v_ashrrev_i32_e32 v9, 31, v8
	v_lshlrev_b64 v[4:5], 2, v[8:9]
	v_lshl_add_u64 v[0:1], s[22:23], 0, v[4:5]
	global_load_dword v12, v[0:1], off
	v_lshl_add_u64 v[6:7], s[12:13], 0, v[4:5]
	v_lshl_add_u64 v[4:5], s[26:27], 0, v[4:5]
	global_load_dword v16, v[4:5], off
	global_load_dword v9, v[6:7], off
	v_lshl_add_u64 v[0:1], v[10:11], 4, s[10:11]
	global_load_dwordx4 v[0:3], v[0:1], off
	s_waitcnt vmcnt(3)
	v_subrev_u32_e32 v4, s33, v12
	v_ashrrev_i32_e32 v5, 31, v4
	v_lshl_add_u64 v[4:5], v[4:5], 4, s[18:19]
	global_load_dwordx4 v[4:7], v[4:5], off
	s_waitcnt vmcnt(2)
	v_cmp_lt_i32_e32 vcc, v16, v9
	s_and_b64 s[2:3], s[0:1], vcc
	v_mov_b64_e32 v[12:13], 0
	s_and_saveexec_b64 s[20:21], s[2:3]
	s_cbranch_execz .LBB64_30
; %bb.25:                               ;   in Loop: Header=BB64_24 Depth=1
	v_subrev_u32_e32 v9, s33, v9
	v_subrev_u32_e32 v16, s33, v16
	v_mov_b64_e32 v[12:13], 0
	s_mov_b64 s[28:29], 0
	v_mov_b32_e32 v18, v25
	v_mov_b64_e32 v[14:15], 0
	s_branch .LBB64_27
.LBB64_26:                              ;   in Loop: Header=BB64_27 Depth=2
	s_or_b64 exec, exec, s[2:3]
	v_cmp_le_i32_e32 vcc, v27, v28
	s_nop 1
	v_addc_co_u32_e32 v18, vcc, 0, v18, vcc
	v_cmp_ge_i32_e32 vcc, v27, v28
	s_nop 1
	v_addc_co_u32_e32 v16, vcc, 0, v16, vcc
	v_cmp_ge_i32_e32 vcc, v18, v24
	v_cmp_ge_i32_e64 s[2:3], v16, v9
	s_or_b64 s[2:3], vcc, s[2:3]
	s_and_b64 s[2:3], exec, s[2:3]
	s_or_b64 s[28:29], s[2:3], s[28:29]
	s_andn2_b64 exec, exec, s[28:29]
	s_cbranch_execz .LBB64_29
.LBB64_27:                              ;   Parent Loop BB64_24 Depth=1
                                        ; =>  This Inner Loop Header: Depth=2
	v_ashrrev_i32_e32 v19, 31, v18
	v_lshl_add_u64 v[28:29], v[18:19], 2, s[24:25]
	v_ashrrev_i32_e32 v17, 31, v16
	global_load_dword v27, v[28:29], off
	v_lshl_add_u64 v[28:29], v[16:17], 2, s[14:15]
	global_load_dword v28, v[28:29], off
	s_waitcnt vmcnt(0)
	v_cmp_eq_u32_e32 vcc, v27, v28
	s_and_saveexec_b64 s[2:3], vcc
	s_cbranch_execz .LBB64_26
; %bb.28:                               ;   in Loop: Header=BB64_27 Depth=2
	v_lshl_add_u64 v[30:31], v[16:17], 2, s[16:17]
	global_load_dword v34, v[30:31], off
	v_lshl_add_u64 v[30:31], v[18:19], 4, s[18:19]
	global_load_dwordx4 v[30:33], v[30:31], off
	s_waitcnt vmcnt(1)
	v_ashrrev_i32_e32 v35, 31, v34
	v_lshl_add_u64 v[34:35], v[34:35], 4, s[18:19]
	global_load_dwordx4 v[34:37], v[34:35], off
	s_waitcnt vmcnt(0)
	v_fmac_f64_e32 v[12:13], v[30:31], v[34:35]
	v_fmac_f64_e32 v[14:15], v[32:33], v[34:35]
	v_fma_f64 v[12:13], -v[32:33], v[36:37], v[12:13]
	v_fmac_f64_e32 v[14:15], v[30:31], v[36:37]
	s_branch .LBB64_26
.LBB64_29:                              ;   in Loop: Header=BB64_24 Depth=1
	s_or_b64 exec, exec, s[28:29]
.LBB64_30:                              ;   in Loop: Header=BB64_24 Depth=1
	s_or_b64 exec, exec, s[20:21]
	s_waitcnt vmcnt(1)
	v_add_f64 v[0:1], v[0:1], -v[12:13]
	v_add_f64 v[2:3], v[2:3], -v[14:15]
	v_cmp_gt_i32_e32 vcc, v20, v8
	s_and_saveexec_b64 s[2:3], vcc
	s_cbranch_execz .LBB64_32
; %bb.31:                               ;   in Loop: Header=BB64_24 Depth=1
	s_waitcnt vmcnt(0)
	v_mul_f64 v[8:9], v[6:7], v[6:7]
	v_fmac_f64_e32 v[8:9], v[4:5], v[4:5]
	v_div_scale_f64 v[12:13], s[20:21], v[8:9], v[8:9], 1.0
	v_rcp_f64_e32 v[14:15], v[12:13]
	v_div_scale_f64 v[16:17], vcc, 1.0, v[8:9], 1.0
	v_fma_f64 v[18:19], -v[12:13], v[14:15], 1.0
	v_fmac_f64_e32 v[14:15], v[14:15], v[18:19]
	v_fma_f64 v[18:19], -v[12:13], v[14:15], 1.0
	v_fmac_f64_e32 v[14:15], v[14:15], v[18:19]
	v_mul_f64 v[18:19], v[16:17], v[14:15]
	v_fma_f64 v[12:13], -v[12:13], v[18:19], v[16:17]
	v_div_fmas_f64 v[12:13], v[12:13], v[14:15], v[18:19]
	v_div_fixup_f64 v[8:9], v[12:13], v[8:9], 1.0
	v_mul_f64 v[12:13], v[6:7], v[2:3]
	v_fmac_f64_e32 v[12:13], v[0:1], v[4:5]
	v_mul_f64 v[0:1], v[6:7], -v[0:1]
	v_mul_f64 v[12:13], v[8:9], v[12:13]
	v_fmac_f64_e32 v[0:1], v[2:3], v[4:5]
	v_mul_f64 v[2:3], v[8:9], v[0:1]
	v_mov_b64_e32 v[0:1], v[12:13]
.LBB64_32:                              ;   in Loop: Header=BB64_24 Depth=1
	s_or_b64 exec, exec, s[2:3]
	s_waitcnt vmcnt(0)
	v_xor_b32_e32 v4, 0x80000000, v1
	v_cmp_gt_f64_e32 vcc, 0, v[0:1]
	v_xor_b32_e32 v6, 0x80000000, v3
                                        ; implicit-def: $vgpr8_vgpr9
	s_nop 0
	v_cndmask_b32_e32 v5, v1, v4, vcc
	v_cmp_gt_f64_e32 vcc, 0, v[2:3]
	v_mov_b32_e32 v4, v0
	s_nop 0
	v_cndmask_b32_e32 v7, v3, v6, vcc
	v_mov_b32_e32 v6, v2
	v_cmp_ngt_f64_e32 vcc, v[4:5], v[6:7]
	s_and_saveexec_b64 s[2:3], vcc
	s_xor_b64 s[2:3], exec, s[2:3]
	s_cbranch_execnz .LBB64_35
; %bb.33:                               ;   in Loop: Header=BB64_24 Depth=1
	s_andn2_saveexec_b64 s[2:3], s[2:3]
	s_cbranch_execnz .LBB64_38
.LBB64_34:                              ;   in Loop: Header=BB64_24 Depth=1
	s_or_b64 exec, exec, s[2:3]
	v_cmp_class_f64_e64 s[20:21], v[8:9], s30
	s_and_saveexec_b64 s[2:3], s[20:21]
	s_cbranch_execz .LBB64_23
	s_branch .LBB64_39
.LBB64_35:                              ;   in Loop: Header=BB64_24 Depth=1
	v_mov_b64_e32 v[8:9], 0
	v_cmp_neq_f64_e32 vcc, 0, v[2:3]
	s_and_saveexec_b64 s[20:21], vcc
	s_cbranch_execz .LBB64_37
; %bb.36:                               ;   in Loop: Header=BB64_24 Depth=1
	v_div_scale_f64 v[8:9], s[28:29], v[6:7], v[6:7], v[4:5]
	v_rcp_f64_e32 v[12:13], v[8:9]
	v_div_scale_f64 v[14:15], vcc, v[4:5], v[6:7], v[4:5]
	v_fma_f64 v[16:17], -v[8:9], v[12:13], 1.0
	v_fmac_f64_e32 v[12:13], v[12:13], v[16:17]
	v_fma_f64 v[16:17], -v[8:9], v[12:13], 1.0
	v_fmac_f64_e32 v[12:13], v[12:13], v[16:17]
	v_mul_f64 v[16:17], v[14:15], v[12:13]
	v_fma_f64 v[8:9], -v[8:9], v[16:17], v[14:15]
	v_div_fmas_f64 v[8:9], v[8:9], v[12:13], v[16:17]
	v_div_fixup_f64 v[4:5], v[8:9], v[6:7], v[4:5]
	v_fma_f64 v[4:5], v[4:5], v[4:5], 1.0
	v_cmp_gt_f64_e32 vcc, s[6:7], v[4:5]
	s_nop 1
	v_cndmask_b32_e32 v8, 0, v23, vcc
	v_ldexp_f64 v[4:5], v[4:5], v8
	v_rsq_f64_e32 v[8:9], v[4:5]
	s_nop 0
	v_mul_f64 v[12:13], v[4:5], v[8:9]
	v_mul_f64 v[8:9], v[8:9], 0.5
	v_fma_f64 v[14:15], -v[8:9], v[12:13], 0.5
	v_fmac_f64_e32 v[12:13], v[12:13], v[14:15]
	v_fma_f64 v[16:17], -v[12:13], v[12:13], v[4:5]
	v_fmac_f64_e32 v[8:9], v[8:9], v[14:15]
	v_fmac_f64_e32 v[12:13], v[16:17], v[8:9]
	v_fma_f64 v[14:15], -v[12:13], v[12:13], v[4:5]
	v_fmac_f64_e32 v[12:13], v[14:15], v[8:9]
	v_cndmask_b32_e32 v8, 0, v26, vcc
	v_ldexp_f64 v[8:9], v[12:13], v8
	v_cmp_class_f64_e32 vcc, v[4:5], v22
	s_nop 1
	v_cndmask_b32_e32 v5, v9, v5, vcc
	v_cndmask_b32_e32 v4, v8, v4, vcc
	v_mul_f64 v[8:9], v[6:7], v[4:5]
.LBB64_37:                              ;   in Loop: Header=BB64_24 Depth=1
	s_or_b64 exec, exec, s[20:21]
                                        ; implicit-def: $vgpr4_vgpr5
                                        ; implicit-def: $vgpr6_vgpr7
	s_andn2_saveexec_b64 s[2:3], s[2:3]
	s_cbranch_execz .LBB64_34
.LBB64_38:                              ;   in Loop: Header=BB64_24 Depth=1
	v_div_scale_f64 v[8:9], s[20:21], v[4:5], v[4:5], v[6:7]
	v_rcp_f64_e32 v[12:13], v[8:9]
	v_div_scale_f64 v[14:15], vcc, v[6:7], v[4:5], v[6:7]
	v_fma_f64 v[16:17], -v[8:9], v[12:13], 1.0
	v_fmac_f64_e32 v[12:13], v[12:13], v[16:17]
	v_fma_f64 v[16:17], -v[8:9], v[12:13], 1.0
	v_fmac_f64_e32 v[12:13], v[12:13], v[16:17]
	v_mul_f64 v[16:17], v[14:15], v[12:13]
	v_fma_f64 v[8:9], -v[8:9], v[16:17], v[14:15]
	v_div_fmas_f64 v[8:9], v[8:9], v[12:13], v[16:17]
	v_div_fixup_f64 v[6:7], v[8:9], v[4:5], v[6:7]
	v_fma_f64 v[6:7], v[6:7], v[6:7], 1.0
	v_cmp_gt_f64_e32 vcc, s[6:7], v[6:7]
	s_nop 1
	v_cndmask_b32_e32 v8, 0, v23, vcc
	v_ldexp_f64 v[6:7], v[6:7], v8
	v_rsq_f64_e32 v[8:9], v[6:7]
	s_nop 0
	v_mul_f64 v[12:13], v[6:7], v[8:9]
	v_mul_f64 v[8:9], v[8:9], 0.5
	v_fma_f64 v[14:15], -v[8:9], v[12:13], 0.5
	v_fmac_f64_e32 v[12:13], v[12:13], v[14:15]
	v_fma_f64 v[16:17], -v[12:13], v[12:13], v[6:7]
	v_fmac_f64_e32 v[8:9], v[8:9], v[14:15]
	v_fmac_f64_e32 v[12:13], v[16:17], v[8:9]
	v_fma_f64 v[14:15], -v[12:13], v[12:13], v[6:7]
	v_fmac_f64_e32 v[12:13], v[14:15], v[8:9]
	v_cndmask_b32_e32 v8, 0, v26, vcc
	v_ldexp_f64 v[8:9], v[12:13], v8
	v_cmp_class_f64_e32 vcc, v[6:7], v22
	s_nop 1
	v_cndmask_b32_e32 v7, v9, v7, vcc
	v_cndmask_b32_e32 v6, v8, v6, vcc
	v_mul_f64 v[8:9], v[4:5], v[6:7]
	s_or_b64 exec, exec, s[2:3]
	v_cmp_class_f64_e64 s[20:21], v[8:9], s30
	s_and_saveexec_b64 s[2:3], s[20:21]
	s_cbranch_execz .LBB64_23
.LBB64_39:                              ;   in Loop: Header=BB64_24 Depth=1
	v_lshl_add_u64 v[4:5], v[10:11], 4, s[18:19]
	global_store_dwordx4 v[4:5], v[0:3], off
	s_branch .LBB64_23
.LBB64_40:
	s_endpgm
	.section	.rodata,"a",@progbits
	.p2align	6, 0x0
	.amdhsa_kernel _ZN9rocsparseL16kernel_calculateILi1024ELi2ELb0E21rocsparse_complex_numIdEiiEEvT4_T3_PKS4_S6_PKS3_PKT2_21rocsparse_index_base_S6_S6_S8_S6_S6_S8_S6_PS9_PNS_15floating_traitsIS9_E6data_tEPKSG_
		.amdhsa_group_segment_fixed_size 0
		.amdhsa_private_segment_fixed_size 0
		.amdhsa_kernarg_size 128
		.amdhsa_user_sgpr_count 2
		.amdhsa_user_sgpr_dispatch_ptr 0
		.amdhsa_user_sgpr_queue_ptr 0
		.amdhsa_user_sgpr_kernarg_segment_ptr 1
		.amdhsa_user_sgpr_dispatch_id 0
		.amdhsa_user_sgpr_kernarg_preload_length 0
		.amdhsa_user_sgpr_kernarg_preload_offset 0
		.amdhsa_user_sgpr_private_segment_size 0
		.amdhsa_uses_dynamic_stack 0
		.amdhsa_enable_private_segment 0
		.amdhsa_system_sgpr_workgroup_id_x 1
		.amdhsa_system_sgpr_workgroup_id_y 0
		.amdhsa_system_sgpr_workgroup_id_z 0
		.amdhsa_system_sgpr_workgroup_info 0
		.amdhsa_system_vgpr_workitem_id 0
		.amdhsa_next_free_vgpr 44
		.amdhsa_next_free_sgpr 38
		.amdhsa_accum_offset 44
		.amdhsa_reserve_vcc 1
		.amdhsa_float_round_mode_32 0
		.amdhsa_float_round_mode_16_64 0
		.amdhsa_float_denorm_mode_32 3
		.amdhsa_float_denorm_mode_16_64 3
		.amdhsa_dx10_clamp 1
		.amdhsa_ieee_mode 1
		.amdhsa_fp16_overflow 0
		.amdhsa_tg_split 0
		.amdhsa_exception_fp_ieee_invalid_op 0
		.amdhsa_exception_fp_denorm_src 0
		.amdhsa_exception_fp_ieee_div_zero 0
		.amdhsa_exception_fp_ieee_overflow 0
		.amdhsa_exception_fp_ieee_underflow 0
		.amdhsa_exception_fp_ieee_inexact 0
		.amdhsa_exception_int_div_zero 0
	.end_amdhsa_kernel
	.section	.text._ZN9rocsparseL16kernel_calculateILi1024ELi2ELb0E21rocsparse_complex_numIdEiiEEvT4_T3_PKS4_S6_PKS3_PKT2_21rocsparse_index_base_S6_S6_S8_S6_S6_S8_S6_PS9_PNS_15floating_traitsIS9_E6data_tEPKSG_,"axG",@progbits,_ZN9rocsparseL16kernel_calculateILi1024ELi2ELb0E21rocsparse_complex_numIdEiiEEvT4_T3_PKS4_S6_PKS3_PKT2_21rocsparse_index_base_S6_S6_S8_S6_S6_S8_S6_PS9_PNS_15floating_traitsIS9_E6data_tEPKSG_,comdat
.Lfunc_end64:
	.size	_ZN9rocsparseL16kernel_calculateILi1024ELi2ELb0E21rocsparse_complex_numIdEiiEEvT4_T3_PKS4_S6_PKS3_PKT2_21rocsparse_index_base_S6_S6_S8_S6_S6_S8_S6_PS9_PNS_15floating_traitsIS9_E6data_tEPKSG_, .Lfunc_end64-_ZN9rocsparseL16kernel_calculateILi1024ELi2ELb0E21rocsparse_complex_numIdEiiEEvT4_T3_PKS4_S6_PKS3_PKT2_21rocsparse_index_base_S6_S6_S8_S6_S6_S8_S6_PS9_PNS_15floating_traitsIS9_E6data_tEPKSG_
                                        ; -- End function
	.set _ZN9rocsparseL16kernel_calculateILi1024ELi2ELb0E21rocsparse_complex_numIdEiiEEvT4_T3_PKS4_S6_PKS3_PKT2_21rocsparse_index_base_S6_S6_S8_S6_S6_S8_S6_PS9_PNS_15floating_traitsIS9_E6data_tEPKSG_.num_vgpr, 44
	.set _ZN9rocsparseL16kernel_calculateILi1024ELi2ELb0E21rocsparse_complex_numIdEiiEEvT4_T3_PKS4_S6_PKS3_PKT2_21rocsparse_index_base_S6_S6_S8_S6_S6_S8_S6_PS9_PNS_15floating_traitsIS9_E6data_tEPKSG_.num_agpr, 0
	.set _ZN9rocsparseL16kernel_calculateILi1024ELi2ELb0E21rocsparse_complex_numIdEiiEEvT4_T3_PKS4_S6_PKS3_PKT2_21rocsparse_index_base_S6_S6_S8_S6_S6_S8_S6_PS9_PNS_15floating_traitsIS9_E6data_tEPKSG_.numbered_sgpr, 38
	.set _ZN9rocsparseL16kernel_calculateILi1024ELi2ELb0E21rocsparse_complex_numIdEiiEEvT4_T3_PKS4_S6_PKS3_PKT2_21rocsparse_index_base_S6_S6_S8_S6_S6_S8_S6_PS9_PNS_15floating_traitsIS9_E6data_tEPKSG_.num_named_barrier, 0
	.set _ZN9rocsparseL16kernel_calculateILi1024ELi2ELb0E21rocsparse_complex_numIdEiiEEvT4_T3_PKS4_S6_PKS3_PKT2_21rocsparse_index_base_S6_S6_S8_S6_S6_S8_S6_PS9_PNS_15floating_traitsIS9_E6data_tEPKSG_.private_seg_size, 0
	.set _ZN9rocsparseL16kernel_calculateILi1024ELi2ELb0E21rocsparse_complex_numIdEiiEEvT4_T3_PKS4_S6_PKS3_PKT2_21rocsparse_index_base_S6_S6_S8_S6_S6_S8_S6_PS9_PNS_15floating_traitsIS9_E6data_tEPKSG_.uses_vcc, 1
	.set _ZN9rocsparseL16kernel_calculateILi1024ELi2ELb0E21rocsparse_complex_numIdEiiEEvT4_T3_PKS4_S6_PKS3_PKT2_21rocsparse_index_base_S6_S6_S8_S6_S6_S8_S6_PS9_PNS_15floating_traitsIS9_E6data_tEPKSG_.uses_flat_scratch, 0
	.set _ZN9rocsparseL16kernel_calculateILi1024ELi2ELb0E21rocsparse_complex_numIdEiiEEvT4_T3_PKS4_S6_PKS3_PKT2_21rocsparse_index_base_S6_S6_S8_S6_S6_S8_S6_PS9_PNS_15floating_traitsIS9_E6data_tEPKSG_.has_dyn_sized_stack, 0
	.set _ZN9rocsparseL16kernel_calculateILi1024ELi2ELb0E21rocsparse_complex_numIdEiiEEvT4_T3_PKS4_S6_PKS3_PKT2_21rocsparse_index_base_S6_S6_S8_S6_S6_S8_S6_PS9_PNS_15floating_traitsIS9_E6data_tEPKSG_.has_recursion, 0
	.set _ZN9rocsparseL16kernel_calculateILi1024ELi2ELb0E21rocsparse_complex_numIdEiiEEvT4_T3_PKS4_S6_PKS3_PKT2_21rocsparse_index_base_S6_S6_S8_S6_S6_S8_S6_PS9_PNS_15floating_traitsIS9_E6data_tEPKSG_.has_indirect_call, 0
	.section	.AMDGPU.csdata,"",@progbits
; Kernel info:
; codeLenInByte = 2768
; TotalNumSgprs: 44
; NumVgprs: 44
; NumAgprs: 0
; TotalNumVgprs: 44
; ScratchSize: 0
; MemoryBound: 1
; FloatMode: 240
; IeeeMode: 1
; LDSByteSize: 0 bytes/workgroup (compile time only)
; SGPRBlocks: 5
; VGPRBlocks: 5
; NumSGPRsForWavesPerEU: 44
; NumVGPRsForWavesPerEU: 44
; AccumOffset: 44
; Occupancy: 8
; WaveLimiterHint : 1
; COMPUTE_PGM_RSRC2:SCRATCH_EN: 0
; COMPUTE_PGM_RSRC2:USER_SGPR: 2
; COMPUTE_PGM_RSRC2:TRAP_HANDLER: 0
; COMPUTE_PGM_RSRC2:TGID_X_EN: 1
; COMPUTE_PGM_RSRC2:TGID_Y_EN: 0
; COMPUTE_PGM_RSRC2:TGID_Z_EN: 0
; COMPUTE_PGM_RSRC2:TIDIG_COMP_CNT: 0
; COMPUTE_PGM_RSRC3_GFX90A:ACCUM_OFFSET: 10
; COMPUTE_PGM_RSRC3_GFX90A:TG_SPLIT: 0
	.section	.text._ZN9rocsparseL16kernel_calculateILi1024ELi4ELb0E21rocsparse_complex_numIdEiiEEvT4_T3_PKS4_S6_PKS3_PKT2_21rocsparse_index_base_S6_S6_S8_S6_S6_S8_S6_PS9_PNS_15floating_traitsIS9_E6data_tEPKSG_,"axG",@progbits,_ZN9rocsparseL16kernel_calculateILi1024ELi4ELb0E21rocsparse_complex_numIdEiiEEvT4_T3_PKS4_S6_PKS3_PKT2_21rocsparse_index_base_S6_S6_S8_S6_S6_S8_S6_PS9_PNS_15floating_traitsIS9_E6data_tEPKSG_,comdat
	.globl	_ZN9rocsparseL16kernel_calculateILi1024ELi4ELb0E21rocsparse_complex_numIdEiiEEvT4_T3_PKS4_S6_PKS3_PKT2_21rocsparse_index_base_S6_S6_S8_S6_S6_S8_S6_PS9_PNS_15floating_traitsIS9_E6data_tEPKSG_ ; -- Begin function _ZN9rocsparseL16kernel_calculateILi1024ELi4ELb0E21rocsparse_complex_numIdEiiEEvT4_T3_PKS4_S6_PKS3_PKT2_21rocsparse_index_base_S6_S6_S8_S6_S6_S8_S6_PS9_PNS_15floating_traitsIS9_E6data_tEPKSG_
	.p2align	8
	.type	_ZN9rocsparseL16kernel_calculateILi1024ELi4ELb0E21rocsparse_complex_numIdEiiEEvT4_T3_PKS4_S6_PKS3_PKT2_21rocsparse_index_base_S6_S6_S8_S6_S6_S8_S6_PS9_PNS_15floating_traitsIS9_E6data_tEPKSG_,@function
_ZN9rocsparseL16kernel_calculateILi1024ELi4ELb0E21rocsparse_complex_numIdEiiEEvT4_T3_PKS4_S6_PKS3_PKT2_21rocsparse_index_base_S6_S6_S8_S6_S6_S8_S6_PS9_PNS_15floating_traitsIS9_E6data_tEPKSG_: ; @_ZN9rocsparseL16kernel_calculateILi1024ELi4ELb0E21rocsparse_complex_numIdEiiEEvT4_T3_PKS4_S6_PKS3_PKT2_21rocsparse_index_base_S6_S6_S8_S6_S6_S8_S6_PS9_PNS_15floating_traitsIS9_E6data_tEPKSG_
; %bb.0:
	s_load_dword s33, s[0:1], 0x0
	v_lshrrev_b32_e32 v1, 2, v0
	v_lshl_or_b32 v22, s2, 10, v1
	s_waitcnt lgkmcnt(0)
	v_cmp_gt_i32_e32 vcc, s33, v22
	s_and_saveexec_b64 s[2:3], vcc
	s_cbranch_execz .LBB65_23
; %bb.1:
	s_load_dword s40, s[0:1], 0x28
	s_load_dwordx8 s[4:11], s[0:1], 0x50
	s_load_dwordx8 s[12:19], s[0:1], 0x30
	;; [unrolled: 1-line block ×3, first 2 shown]
	v_and_b32_e32 v0, 3, v0
	s_mov_b32 s28, 0
	s_waitcnt lgkmcnt(0)
	v_subrev_u32_e32 v23, s40, v0
	s_mov_b32 s41, 0
	s_brev_b32 s29, 8
	v_mov_b32_e32 v24, 0x260
	s_movk_i32 s42, 0x1f8
	v_mov_b32_e32 v25, 0x100
	v_mov_b32_e32 v26, 0xffffff80
	s_branch .LBB65_3
.LBB65_2:                               ;   in Loop: Header=BB65_3 Depth=1
	s_or_b64 exec, exec, s[30:31]
	s_add_i32 s41, s41, 1
	s_cmp_lg_u32 s41, 4
	s_cbranch_scc0 .LBB65_23
.LBB65_3:                               ; =>This Loop Header: Depth=1
                                        ;     Child Loop BB65_7 Depth 2
                                        ;       Child Loop BB65_10 Depth 3
	v_lshl_add_u32 v8, s41, 8, v22
	v_cmp_gt_i32_e32 vcc, s33, v8
	s_and_saveexec_b64 s[30:31], vcc
	s_cbranch_execz .LBB65_2
; %bb.4:                                ;   in Loop: Header=BB65_3 Depth=1
	v_ashrrev_i32_e32 v9, 31, v8
	v_lshlrev_b64 v[0:1], 2, v[8:9]
	v_lshl_add_u64 v[2:3], s[22:23], 0, v[0:1]
	global_load_dword v4, v[2:3], off
	v_lshl_add_u64 v[2:3], s[20:21], 0, v[0:1]
	global_load_dword v2, v[2:3], off
	s_waitcnt vmcnt(1)
	v_subrev_u32_e32 v9, s40, v4
	s_waitcnt vmcnt(0)
	v_add_u32_e32 v10, v23, v2
	v_cmp_lt_i32_e32 vcc, v10, v9
	s_and_b64 exec, exec, vcc
	s_cbranch_execz .LBB65_2
; %bb.5:                                ;   in Loop: Header=BB65_3 Depth=1
	v_lshl_add_u64 v[2:3], s[14:15], 0, v[0:1]
	v_lshl_add_u64 v[0:1], s[12:13], 0, v[0:1]
	global_load_dword v2, v[2:3], off
	s_mov_b64 s[34:35], 0
	global_load_dword v0, v[0:1], off
	s_waitcnt vmcnt(1)
	v_subrev_u32_e32 v27, s40, v2
	s_waitcnt vmcnt(0)
	v_cmp_lt_i32_e64 s[0:1], v0, v2
	v_subrev_u32_e32 v28, s40, v0
	s_branch .LBB65_7
.LBB65_6:                               ;   in Loop: Header=BB65_7 Depth=2
	s_or_b64 exec, exec, s[2:3]
	v_add_u32_e32 v10, 4, v10
	v_cmp_ge_i32_e32 vcc, v10, v9
	s_or_b64 s[34:35], vcc, s[34:35]
	s_andn2_b64 exec, exec, s[34:35]
	s_cbranch_execz .LBB65_2
.LBB65_7:                               ;   Parent Loop BB65_3 Depth=1
                                        ; =>  This Loop Header: Depth=2
                                        ;       Child Loop BB65_10 Depth 3
	v_ashrrev_i32_e32 v11, 31, v10
	v_lshl_add_u64 v[0:1], v[10:11], 2, s[24:25]
	global_load_dword v0, v[0:1], off
	v_mov_b64_e32 v[16:17], 0
	s_waitcnt vmcnt(0)
	v_subrev_u32_e32 v12, s40, v0
	v_ashrrev_i32_e32 v13, 31, v12
	v_lshlrev_b64 v[4:5], 2, v[12:13]
	v_lshl_add_u64 v[0:1], s[14:15], 0, v[4:5]
	global_load_dword v14, v[0:1], off
	v_lshl_add_u64 v[6:7], s[4:5], 0, v[4:5]
	v_lshl_add_u64 v[4:5], s[18:19], 0, v[4:5]
	global_load_dword v18, v[4:5], off
	global_load_dword v13, v[6:7], off
	v_lshl_add_u64 v[0:1], v[10:11], 4, s[26:27]
	global_load_dwordx4 v[0:3], v[0:1], off
	s_waitcnt vmcnt(3)
	v_subrev_u32_e32 v4, s40, v14
	v_ashrrev_i32_e32 v5, 31, v4
	v_lshl_add_u64 v[4:5], v[4:5], 4, s[10:11]
	global_load_dwordx4 v[4:7], v[4:5], off
	s_waitcnt vmcnt(2)
	v_cmp_lt_i32_e32 vcc, v18, v13
	s_and_b64 s[2:3], s[0:1], vcc
	v_mov_b64_e32 v[14:15], 0
	s_and_saveexec_b64 s[36:37], s[2:3]
	s_cbranch_execz .LBB65_13
; %bb.8:                                ;   in Loop: Header=BB65_7 Depth=2
	v_subrev_u32_e32 v13, s40, v13
	v_subrev_u32_e32 v18, s40, v18
	v_mov_b64_e32 v[14:15], 0
	s_mov_b64 s[38:39], 0
	v_mov_b32_e32 v20, v28
	v_mov_b64_e32 v[16:17], 0
	s_branch .LBB65_10
.LBB65_9:                               ;   in Loop: Header=BB65_10 Depth=3
	s_or_b64 exec, exec, s[2:3]
	v_cmp_le_i32_e32 vcc, v29, v30
	s_nop 1
	v_addc_co_u32_e32 v20, vcc, 0, v20, vcc
	v_cmp_ge_i32_e32 vcc, v29, v30
	s_nop 1
	v_addc_co_u32_e32 v18, vcc, 0, v18, vcc
	v_cmp_ge_i32_e32 vcc, v20, v27
	v_cmp_ge_i32_e64 s[2:3], v18, v13
	s_or_b64 s[2:3], vcc, s[2:3]
	s_and_b64 s[2:3], exec, s[2:3]
	s_or_b64 s[38:39], s[2:3], s[38:39]
	s_andn2_b64 exec, exec, s[38:39]
	s_cbranch_execz .LBB65_12
.LBB65_10:                              ;   Parent Loop BB65_3 Depth=1
                                        ;     Parent Loop BB65_7 Depth=2
                                        ; =>    This Inner Loop Header: Depth=3
	v_ashrrev_i32_e32 v21, 31, v20
	v_lshl_add_u64 v[30:31], v[20:21], 2, s[16:17]
	v_ashrrev_i32_e32 v19, 31, v18
	global_load_dword v29, v[30:31], off
	v_lshl_add_u64 v[30:31], v[18:19], 2, s[6:7]
	global_load_dword v30, v[30:31], off
	s_waitcnt vmcnt(0)
	v_cmp_eq_u32_e32 vcc, v29, v30
	s_and_saveexec_b64 s[2:3], vcc
	s_cbranch_execz .LBB65_9
; %bb.11:                               ;   in Loop: Header=BB65_10 Depth=3
	v_lshl_add_u64 v[32:33], v[18:19], 2, s[8:9]
	global_load_dword v36, v[32:33], off
	v_lshl_add_u64 v[32:33], v[20:21], 4, s[10:11]
	global_load_dwordx4 v[32:35], v[32:33], off
	s_waitcnt vmcnt(1)
	v_ashrrev_i32_e32 v37, 31, v36
	v_lshl_add_u64 v[36:37], v[36:37], 4, s[10:11]
	global_load_dwordx4 v[36:39], v[36:37], off
	s_waitcnt vmcnt(0)
	v_fmac_f64_e32 v[14:15], v[32:33], v[36:37]
	v_fmac_f64_e32 v[16:17], v[34:35], v[36:37]
	v_fma_f64 v[14:15], -v[34:35], v[38:39], v[14:15]
	v_fmac_f64_e32 v[16:17], v[32:33], v[38:39]
	s_branch .LBB65_9
.LBB65_12:                              ;   in Loop: Header=BB65_7 Depth=2
	s_or_b64 exec, exec, s[38:39]
.LBB65_13:                              ;   in Loop: Header=BB65_7 Depth=2
	s_or_b64 exec, exec, s[36:37]
	s_waitcnt vmcnt(1)
	v_add_f64 v[0:1], v[0:1], -v[14:15]
	v_add_f64 v[2:3], v[2:3], -v[16:17]
	v_cmp_gt_i32_e32 vcc, v8, v12
	s_and_saveexec_b64 s[2:3], vcc
	s_cbranch_execz .LBB65_15
; %bb.14:                               ;   in Loop: Header=BB65_7 Depth=2
	s_waitcnt vmcnt(0)
	v_mul_f64 v[12:13], v[6:7], v[6:7]
	v_fmac_f64_e32 v[12:13], v[4:5], v[4:5]
	v_div_scale_f64 v[14:15], s[36:37], v[12:13], v[12:13], 1.0
	v_rcp_f64_e32 v[16:17], v[14:15]
	v_div_scale_f64 v[18:19], vcc, 1.0, v[12:13], 1.0
	v_fma_f64 v[20:21], -v[14:15], v[16:17], 1.0
	v_fmac_f64_e32 v[16:17], v[16:17], v[20:21]
	v_fma_f64 v[20:21], -v[14:15], v[16:17], 1.0
	v_fmac_f64_e32 v[16:17], v[16:17], v[20:21]
	v_mul_f64 v[20:21], v[18:19], v[16:17]
	v_fma_f64 v[14:15], -v[14:15], v[20:21], v[18:19]
	v_div_fmas_f64 v[14:15], v[14:15], v[16:17], v[20:21]
	v_div_fixup_f64 v[12:13], v[14:15], v[12:13], 1.0
	v_mul_f64 v[14:15], v[6:7], v[2:3]
	v_fmac_f64_e32 v[14:15], v[0:1], v[4:5]
	v_mul_f64 v[0:1], v[6:7], -v[0:1]
	v_mul_f64 v[14:15], v[12:13], v[14:15]
	v_fmac_f64_e32 v[0:1], v[2:3], v[4:5]
	v_mul_f64 v[2:3], v[12:13], v[0:1]
	v_mov_b64_e32 v[0:1], v[14:15]
.LBB65_15:                              ;   in Loop: Header=BB65_7 Depth=2
	s_or_b64 exec, exec, s[2:3]
	s_waitcnt vmcnt(0)
	v_xor_b32_e32 v4, 0x80000000, v1
	v_cmp_gt_f64_e32 vcc, 0, v[0:1]
	v_xor_b32_e32 v6, 0x80000000, v3
                                        ; implicit-def: $vgpr12_vgpr13
	s_nop 0
	v_cndmask_b32_e32 v5, v1, v4, vcc
	v_cmp_gt_f64_e32 vcc, 0, v[2:3]
	v_mov_b32_e32 v4, v0
	s_nop 0
	v_cndmask_b32_e32 v7, v3, v6, vcc
	v_mov_b32_e32 v6, v2
	v_cmp_ngt_f64_e32 vcc, v[4:5], v[6:7]
	s_and_saveexec_b64 s[2:3], vcc
	s_xor_b64 s[2:3], exec, s[2:3]
	s_cbranch_execnz .LBB65_18
; %bb.16:                               ;   in Loop: Header=BB65_7 Depth=2
	s_andn2_saveexec_b64 s[2:3], s[2:3]
	s_cbranch_execnz .LBB65_21
.LBB65_17:                              ;   in Loop: Header=BB65_7 Depth=2
	s_or_b64 exec, exec, s[2:3]
	v_cmp_class_f64_e64 s[36:37], v[12:13], s42
	s_and_saveexec_b64 s[2:3], s[36:37]
	s_cbranch_execz .LBB65_6
	s_branch .LBB65_22
.LBB65_18:                              ;   in Loop: Header=BB65_7 Depth=2
	v_mov_b64_e32 v[12:13], 0
	v_cmp_neq_f64_e32 vcc, 0, v[2:3]
	s_and_saveexec_b64 s[36:37], vcc
	s_cbranch_execz .LBB65_20
; %bb.19:                               ;   in Loop: Header=BB65_7 Depth=2
	v_div_scale_f64 v[12:13], s[38:39], v[6:7], v[6:7], v[4:5]
	v_rcp_f64_e32 v[14:15], v[12:13]
	v_div_scale_f64 v[16:17], vcc, v[4:5], v[6:7], v[4:5]
	v_fma_f64 v[18:19], -v[12:13], v[14:15], 1.0
	v_fmac_f64_e32 v[14:15], v[14:15], v[18:19]
	v_fma_f64 v[18:19], -v[12:13], v[14:15], 1.0
	v_fmac_f64_e32 v[14:15], v[14:15], v[18:19]
	v_mul_f64 v[18:19], v[16:17], v[14:15]
	v_fma_f64 v[12:13], -v[12:13], v[18:19], v[16:17]
	v_div_fmas_f64 v[12:13], v[12:13], v[14:15], v[18:19]
	v_div_fixup_f64 v[4:5], v[12:13], v[6:7], v[4:5]
	v_fma_f64 v[4:5], v[4:5], v[4:5], 1.0
	v_cmp_gt_f64_e32 vcc, s[28:29], v[4:5]
	s_nop 1
	v_cndmask_b32_e32 v12, 0, v25, vcc
	v_ldexp_f64 v[4:5], v[4:5], v12
	v_rsq_f64_e32 v[12:13], v[4:5]
	s_nop 0
	v_mul_f64 v[14:15], v[4:5], v[12:13]
	v_mul_f64 v[12:13], v[12:13], 0.5
	v_fma_f64 v[16:17], -v[12:13], v[14:15], 0.5
	v_fmac_f64_e32 v[14:15], v[14:15], v[16:17]
	v_fma_f64 v[18:19], -v[14:15], v[14:15], v[4:5]
	v_fmac_f64_e32 v[12:13], v[12:13], v[16:17]
	v_fmac_f64_e32 v[14:15], v[18:19], v[12:13]
	v_fma_f64 v[16:17], -v[14:15], v[14:15], v[4:5]
	v_fmac_f64_e32 v[14:15], v[16:17], v[12:13]
	v_cndmask_b32_e32 v12, 0, v26, vcc
	v_ldexp_f64 v[12:13], v[14:15], v12
	v_cmp_class_f64_e32 vcc, v[4:5], v24
	s_nop 1
	v_cndmask_b32_e32 v5, v13, v5, vcc
	v_cndmask_b32_e32 v4, v12, v4, vcc
	v_mul_f64 v[12:13], v[6:7], v[4:5]
.LBB65_20:                              ;   in Loop: Header=BB65_7 Depth=2
	s_or_b64 exec, exec, s[36:37]
                                        ; implicit-def: $vgpr4_vgpr5
                                        ; implicit-def: $vgpr6_vgpr7
	s_andn2_saveexec_b64 s[2:3], s[2:3]
	s_cbranch_execz .LBB65_17
.LBB65_21:                              ;   in Loop: Header=BB65_7 Depth=2
	v_div_scale_f64 v[12:13], s[36:37], v[4:5], v[4:5], v[6:7]
	v_rcp_f64_e32 v[14:15], v[12:13]
	v_div_scale_f64 v[16:17], vcc, v[6:7], v[4:5], v[6:7]
	v_fma_f64 v[18:19], -v[12:13], v[14:15], 1.0
	v_fmac_f64_e32 v[14:15], v[14:15], v[18:19]
	v_fma_f64 v[18:19], -v[12:13], v[14:15], 1.0
	v_fmac_f64_e32 v[14:15], v[14:15], v[18:19]
	v_mul_f64 v[18:19], v[16:17], v[14:15]
	v_fma_f64 v[12:13], -v[12:13], v[18:19], v[16:17]
	v_div_fmas_f64 v[12:13], v[12:13], v[14:15], v[18:19]
	v_div_fixup_f64 v[6:7], v[12:13], v[4:5], v[6:7]
	v_fma_f64 v[6:7], v[6:7], v[6:7], 1.0
	v_cmp_gt_f64_e32 vcc, s[28:29], v[6:7]
	s_nop 1
	v_cndmask_b32_e32 v12, 0, v25, vcc
	v_ldexp_f64 v[6:7], v[6:7], v12
	v_rsq_f64_e32 v[12:13], v[6:7]
	s_nop 0
	v_mul_f64 v[14:15], v[6:7], v[12:13]
	v_mul_f64 v[12:13], v[12:13], 0.5
	v_fma_f64 v[16:17], -v[12:13], v[14:15], 0.5
	v_fmac_f64_e32 v[14:15], v[14:15], v[16:17]
	v_fma_f64 v[18:19], -v[14:15], v[14:15], v[6:7]
	v_fmac_f64_e32 v[12:13], v[12:13], v[16:17]
	v_fmac_f64_e32 v[14:15], v[18:19], v[12:13]
	v_fma_f64 v[16:17], -v[14:15], v[14:15], v[6:7]
	v_fmac_f64_e32 v[14:15], v[16:17], v[12:13]
	v_cndmask_b32_e32 v12, 0, v26, vcc
	v_ldexp_f64 v[12:13], v[14:15], v12
	v_cmp_class_f64_e32 vcc, v[6:7], v24
	s_nop 1
	v_cndmask_b32_e32 v7, v13, v7, vcc
	v_cndmask_b32_e32 v6, v12, v6, vcc
	v_mul_f64 v[12:13], v[4:5], v[6:7]
	s_or_b64 exec, exec, s[2:3]
	v_cmp_class_f64_e64 s[36:37], v[12:13], s42
	s_and_saveexec_b64 s[2:3], s[36:37]
	s_cbranch_execz .LBB65_6
.LBB65_22:                              ;   in Loop: Header=BB65_7 Depth=2
	v_lshl_add_u64 v[4:5], v[10:11], 4, s[10:11]
	global_store_dwordx4 v[4:5], v[0:3], off
	s_branch .LBB65_6
.LBB65_23:
	s_endpgm
	.section	.rodata,"a",@progbits
	.p2align	6, 0x0
	.amdhsa_kernel _ZN9rocsparseL16kernel_calculateILi1024ELi4ELb0E21rocsparse_complex_numIdEiiEEvT4_T3_PKS4_S6_PKS3_PKT2_21rocsparse_index_base_S6_S6_S8_S6_S6_S8_S6_PS9_PNS_15floating_traitsIS9_E6data_tEPKSG_
		.amdhsa_group_segment_fixed_size 0
		.amdhsa_private_segment_fixed_size 0
		.amdhsa_kernarg_size 128
		.amdhsa_user_sgpr_count 2
		.amdhsa_user_sgpr_dispatch_ptr 0
		.amdhsa_user_sgpr_queue_ptr 0
		.amdhsa_user_sgpr_kernarg_segment_ptr 1
		.amdhsa_user_sgpr_dispatch_id 0
		.amdhsa_user_sgpr_kernarg_preload_length 0
		.amdhsa_user_sgpr_kernarg_preload_offset 0
		.amdhsa_user_sgpr_private_segment_size 0
		.amdhsa_uses_dynamic_stack 0
		.amdhsa_enable_private_segment 0
		.amdhsa_system_sgpr_workgroup_id_x 1
		.amdhsa_system_sgpr_workgroup_id_y 0
		.amdhsa_system_sgpr_workgroup_id_z 0
		.amdhsa_system_sgpr_workgroup_info 0
		.amdhsa_system_vgpr_workitem_id 0
		.amdhsa_next_free_vgpr 40
		.amdhsa_next_free_sgpr 43
		.amdhsa_accum_offset 40
		.amdhsa_reserve_vcc 1
		.amdhsa_float_round_mode_32 0
		.amdhsa_float_round_mode_16_64 0
		.amdhsa_float_denorm_mode_32 3
		.amdhsa_float_denorm_mode_16_64 3
		.amdhsa_dx10_clamp 1
		.amdhsa_ieee_mode 1
		.amdhsa_fp16_overflow 0
		.amdhsa_tg_split 0
		.amdhsa_exception_fp_ieee_invalid_op 0
		.amdhsa_exception_fp_denorm_src 0
		.amdhsa_exception_fp_ieee_div_zero 0
		.amdhsa_exception_fp_ieee_overflow 0
		.amdhsa_exception_fp_ieee_underflow 0
		.amdhsa_exception_fp_ieee_inexact 0
		.amdhsa_exception_int_div_zero 0
	.end_amdhsa_kernel
	.section	.text._ZN9rocsparseL16kernel_calculateILi1024ELi4ELb0E21rocsparse_complex_numIdEiiEEvT4_T3_PKS4_S6_PKS3_PKT2_21rocsparse_index_base_S6_S6_S8_S6_S6_S8_S6_PS9_PNS_15floating_traitsIS9_E6data_tEPKSG_,"axG",@progbits,_ZN9rocsparseL16kernel_calculateILi1024ELi4ELb0E21rocsparse_complex_numIdEiiEEvT4_T3_PKS4_S6_PKS3_PKT2_21rocsparse_index_base_S6_S6_S8_S6_S6_S8_S6_PS9_PNS_15floating_traitsIS9_E6data_tEPKSG_,comdat
.Lfunc_end65:
	.size	_ZN9rocsparseL16kernel_calculateILi1024ELi4ELb0E21rocsparse_complex_numIdEiiEEvT4_T3_PKS4_S6_PKS3_PKT2_21rocsparse_index_base_S6_S6_S8_S6_S6_S8_S6_PS9_PNS_15floating_traitsIS9_E6data_tEPKSG_, .Lfunc_end65-_ZN9rocsparseL16kernel_calculateILi1024ELi4ELb0E21rocsparse_complex_numIdEiiEEvT4_T3_PKS4_S6_PKS3_PKT2_21rocsparse_index_base_S6_S6_S8_S6_S6_S8_S6_PS9_PNS_15floating_traitsIS9_E6data_tEPKSG_
                                        ; -- End function
	.set _ZN9rocsparseL16kernel_calculateILi1024ELi4ELb0E21rocsparse_complex_numIdEiiEEvT4_T3_PKS4_S6_PKS3_PKT2_21rocsparse_index_base_S6_S6_S8_S6_S6_S8_S6_PS9_PNS_15floating_traitsIS9_E6data_tEPKSG_.num_vgpr, 40
	.set _ZN9rocsparseL16kernel_calculateILi1024ELi4ELb0E21rocsparse_complex_numIdEiiEEvT4_T3_PKS4_S6_PKS3_PKT2_21rocsparse_index_base_S6_S6_S8_S6_S6_S8_S6_PS9_PNS_15floating_traitsIS9_E6data_tEPKSG_.num_agpr, 0
	.set _ZN9rocsparseL16kernel_calculateILi1024ELi4ELb0E21rocsparse_complex_numIdEiiEEvT4_T3_PKS4_S6_PKS3_PKT2_21rocsparse_index_base_S6_S6_S8_S6_S6_S8_S6_PS9_PNS_15floating_traitsIS9_E6data_tEPKSG_.numbered_sgpr, 43
	.set _ZN9rocsparseL16kernel_calculateILi1024ELi4ELb0E21rocsparse_complex_numIdEiiEEvT4_T3_PKS4_S6_PKS3_PKT2_21rocsparse_index_base_S6_S6_S8_S6_S6_S8_S6_PS9_PNS_15floating_traitsIS9_E6data_tEPKSG_.num_named_barrier, 0
	.set _ZN9rocsparseL16kernel_calculateILi1024ELi4ELb0E21rocsparse_complex_numIdEiiEEvT4_T3_PKS4_S6_PKS3_PKT2_21rocsparse_index_base_S6_S6_S8_S6_S6_S8_S6_PS9_PNS_15floating_traitsIS9_E6data_tEPKSG_.private_seg_size, 0
	.set _ZN9rocsparseL16kernel_calculateILi1024ELi4ELb0E21rocsparse_complex_numIdEiiEEvT4_T3_PKS4_S6_PKS3_PKT2_21rocsparse_index_base_S6_S6_S8_S6_S6_S8_S6_PS9_PNS_15floating_traitsIS9_E6data_tEPKSG_.uses_vcc, 1
	.set _ZN9rocsparseL16kernel_calculateILi1024ELi4ELb0E21rocsparse_complex_numIdEiiEEvT4_T3_PKS4_S6_PKS3_PKT2_21rocsparse_index_base_S6_S6_S8_S6_S6_S8_S6_PS9_PNS_15floating_traitsIS9_E6data_tEPKSG_.uses_flat_scratch, 0
	.set _ZN9rocsparseL16kernel_calculateILi1024ELi4ELb0E21rocsparse_complex_numIdEiiEEvT4_T3_PKS4_S6_PKS3_PKT2_21rocsparse_index_base_S6_S6_S8_S6_S6_S8_S6_PS9_PNS_15floating_traitsIS9_E6data_tEPKSG_.has_dyn_sized_stack, 0
	.set _ZN9rocsparseL16kernel_calculateILi1024ELi4ELb0E21rocsparse_complex_numIdEiiEEvT4_T3_PKS4_S6_PKS3_PKT2_21rocsparse_index_base_S6_S6_S8_S6_S6_S8_S6_PS9_PNS_15floating_traitsIS9_E6data_tEPKSG_.has_recursion, 0
	.set _ZN9rocsparseL16kernel_calculateILi1024ELi4ELb0E21rocsparse_complex_numIdEiiEEvT4_T3_PKS4_S6_PKS3_PKT2_21rocsparse_index_base_S6_S6_S8_S6_S6_S8_S6_PS9_PNS_15floating_traitsIS9_E6data_tEPKSG_.has_indirect_call, 0
	.section	.AMDGPU.csdata,"",@progbits
; Kernel info:
; codeLenInByte = 1468
; TotalNumSgprs: 49
; NumVgprs: 40
; NumAgprs: 0
; TotalNumVgprs: 40
; ScratchSize: 0
; MemoryBound: 1
; FloatMode: 240
; IeeeMode: 1
; LDSByteSize: 0 bytes/workgroup (compile time only)
; SGPRBlocks: 6
; VGPRBlocks: 4
; NumSGPRsForWavesPerEU: 49
; NumVGPRsForWavesPerEU: 40
; AccumOffset: 40
; Occupancy: 8
; WaveLimiterHint : 1
; COMPUTE_PGM_RSRC2:SCRATCH_EN: 0
; COMPUTE_PGM_RSRC2:USER_SGPR: 2
; COMPUTE_PGM_RSRC2:TRAP_HANDLER: 0
; COMPUTE_PGM_RSRC2:TGID_X_EN: 1
; COMPUTE_PGM_RSRC2:TGID_Y_EN: 0
; COMPUTE_PGM_RSRC2:TGID_Z_EN: 0
; COMPUTE_PGM_RSRC2:TIDIG_COMP_CNT: 0
; COMPUTE_PGM_RSRC3_GFX90A:ACCUM_OFFSET: 9
; COMPUTE_PGM_RSRC3_GFX90A:TG_SPLIT: 0
	.section	.text._ZN9rocsparseL16kernel_calculateILi1024ELi8ELb0E21rocsparse_complex_numIdEiiEEvT4_T3_PKS4_S6_PKS3_PKT2_21rocsparse_index_base_S6_S6_S8_S6_S6_S8_S6_PS9_PNS_15floating_traitsIS9_E6data_tEPKSG_,"axG",@progbits,_ZN9rocsparseL16kernel_calculateILi1024ELi8ELb0E21rocsparse_complex_numIdEiiEEvT4_T3_PKS4_S6_PKS3_PKT2_21rocsparse_index_base_S6_S6_S8_S6_S6_S8_S6_PS9_PNS_15floating_traitsIS9_E6data_tEPKSG_,comdat
	.globl	_ZN9rocsparseL16kernel_calculateILi1024ELi8ELb0E21rocsparse_complex_numIdEiiEEvT4_T3_PKS4_S6_PKS3_PKT2_21rocsparse_index_base_S6_S6_S8_S6_S6_S8_S6_PS9_PNS_15floating_traitsIS9_E6data_tEPKSG_ ; -- Begin function _ZN9rocsparseL16kernel_calculateILi1024ELi8ELb0E21rocsparse_complex_numIdEiiEEvT4_T3_PKS4_S6_PKS3_PKT2_21rocsparse_index_base_S6_S6_S8_S6_S6_S8_S6_PS9_PNS_15floating_traitsIS9_E6data_tEPKSG_
	.p2align	8
	.type	_ZN9rocsparseL16kernel_calculateILi1024ELi8ELb0E21rocsparse_complex_numIdEiiEEvT4_T3_PKS4_S6_PKS3_PKT2_21rocsparse_index_base_S6_S6_S8_S6_S6_S8_S6_PS9_PNS_15floating_traitsIS9_E6data_tEPKSG_,@function
_ZN9rocsparseL16kernel_calculateILi1024ELi8ELb0E21rocsparse_complex_numIdEiiEEvT4_T3_PKS4_S6_PKS3_PKT2_21rocsparse_index_base_S6_S6_S8_S6_S6_S8_S6_PS9_PNS_15floating_traitsIS9_E6data_tEPKSG_: ; @_ZN9rocsparseL16kernel_calculateILi1024ELi8ELb0E21rocsparse_complex_numIdEiiEEvT4_T3_PKS4_S6_PKS3_PKT2_21rocsparse_index_base_S6_S6_S8_S6_S6_S8_S6_PS9_PNS_15floating_traitsIS9_E6data_tEPKSG_
; %bb.0:
	s_load_dword s33, s[0:1], 0x0
	v_lshrrev_b32_e32 v1, 3, v0
	v_lshl_or_b32 v22, s2, 10, v1
	s_waitcnt lgkmcnt(0)
	v_cmp_gt_i32_e32 vcc, s33, v22
	s_and_saveexec_b64 s[2:3], vcc
	s_cbranch_execz .LBB66_23
; %bb.1:
	s_load_dword s40, s[0:1], 0x28
	s_load_dwordx8 s[4:11], s[0:1], 0x50
	s_load_dwordx8 s[12:19], s[0:1], 0x30
	;; [unrolled: 1-line block ×3, first 2 shown]
	v_and_b32_e32 v0, 7, v0
	s_mov_b32 s28, 0
	s_waitcnt lgkmcnt(0)
	v_subrev_u32_e32 v23, s40, v0
	s_mov_b32 s41, 0
	s_brev_b32 s29, 8
	v_mov_b32_e32 v24, 0x260
	s_movk_i32 s42, 0x1f8
	v_mov_b32_e32 v25, 0x100
	v_mov_b32_e32 v26, 0xffffff80
	s_branch .LBB66_3
.LBB66_2:                               ;   in Loop: Header=BB66_3 Depth=1
	s_or_b64 exec, exec, s[30:31]
	s_add_i32 s41, s41, 1
	s_cmp_lg_u32 s41, 8
	s_cbranch_scc0 .LBB66_23
.LBB66_3:                               ; =>This Loop Header: Depth=1
                                        ;     Child Loop BB66_7 Depth 2
                                        ;       Child Loop BB66_10 Depth 3
	v_lshl_add_u32 v8, s41, 7, v22
	v_cmp_gt_i32_e32 vcc, s33, v8
	s_and_saveexec_b64 s[30:31], vcc
	s_cbranch_execz .LBB66_2
; %bb.4:                                ;   in Loop: Header=BB66_3 Depth=1
	v_ashrrev_i32_e32 v9, 31, v8
	v_lshlrev_b64 v[0:1], 2, v[8:9]
	v_lshl_add_u64 v[2:3], s[22:23], 0, v[0:1]
	global_load_dword v4, v[2:3], off
	v_lshl_add_u64 v[2:3], s[20:21], 0, v[0:1]
	global_load_dword v2, v[2:3], off
	s_waitcnt vmcnt(1)
	v_subrev_u32_e32 v9, s40, v4
	s_waitcnt vmcnt(0)
	v_add_u32_e32 v10, v23, v2
	v_cmp_lt_i32_e32 vcc, v10, v9
	s_and_b64 exec, exec, vcc
	s_cbranch_execz .LBB66_2
; %bb.5:                                ;   in Loop: Header=BB66_3 Depth=1
	v_lshl_add_u64 v[2:3], s[14:15], 0, v[0:1]
	v_lshl_add_u64 v[0:1], s[12:13], 0, v[0:1]
	global_load_dword v2, v[2:3], off
	s_mov_b64 s[34:35], 0
	global_load_dword v0, v[0:1], off
	s_waitcnt vmcnt(1)
	v_subrev_u32_e32 v27, s40, v2
	s_waitcnt vmcnt(0)
	v_cmp_lt_i32_e64 s[0:1], v0, v2
	v_subrev_u32_e32 v28, s40, v0
	s_branch .LBB66_7
.LBB66_6:                               ;   in Loop: Header=BB66_7 Depth=2
	s_or_b64 exec, exec, s[2:3]
	v_add_u32_e32 v10, 8, v10
	v_cmp_ge_i32_e32 vcc, v10, v9
	s_or_b64 s[34:35], vcc, s[34:35]
	s_andn2_b64 exec, exec, s[34:35]
	s_cbranch_execz .LBB66_2
.LBB66_7:                               ;   Parent Loop BB66_3 Depth=1
                                        ; =>  This Loop Header: Depth=2
                                        ;       Child Loop BB66_10 Depth 3
	v_ashrrev_i32_e32 v11, 31, v10
	v_lshl_add_u64 v[0:1], v[10:11], 2, s[24:25]
	global_load_dword v0, v[0:1], off
	v_mov_b64_e32 v[16:17], 0
	s_waitcnt vmcnt(0)
	v_subrev_u32_e32 v12, s40, v0
	v_ashrrev_i32_e32 v13, 31, v12
	v_lshlrev_b64 v[4:5], 2, v[12:13]
	v_lshl_add_u64 v[0:1], s[14:15], 0, v[4:5]
	global_load_dword v14, v[0:1], off
	v_lshl_add_u64 v[6:7], s[4:5], 0, v[4:5]
	v_lshl_add_u64 v[4:5], s[18:19], 0, v[4:5]
	global_load_dword v18, v[4:5], off
	global_load_dword v13, v[6:7], off
	v_lshl_add_u64 v[0:1], v[10:11], 4, s[26:27]
	global_load_dwordx4 v[0:3], v[0:1], off
	s_waitcnt vmcnt(3)
	v_subrev_u32_e32 v4, s40, v14
	v_ashrrev_i32_e32 v5, 31, v4
	v_lshl_add_u64 v[4:5], v[4:5], 4, s[10:11]
	global_load_dwordx4 v[4:7], v[4:5], off
	s_waitcnt vmcnt(2)
	v_cmp_lt_i32_e32 vcc, v18, v13
	s_and_b64 s[2:3], s[0:1], vcc
	v_mov_b64_e32 v[14:15], 0
	s_and_saveexec_b64 s[36:37], s[2:3]
	s_cbranch_execz .LBB66_13
; %bb.8:                                ;   in Loop: Header=BB66_7 Depth=2
	v_subrev_u32_e32 v13, s40, v13
	v_subrev_u32_e32 v18, s40, v18
	v_mov_b64_e32 v[14:15], 0
	s_mov_b64 s[38:39], 0
	v_mov_b32_e32 v20, v28
	v_mov_b64_e32 v[16:17], 0
	s_branch .LBB66_10
.LBB66_9:                               ;   in Loop: Header=BB66_10 Depth=3
	s_or_b64 exec, exec, s[2:3]
	v_cmp_le_i32_e32 vcc, v29, v30
	s_nop 1
	v_addc_co_u32_e32 v20, vcc, 0, v20, vcc
	v_cmp_ge_i32_e32 vcc, v29, v30
	s_nop 1
	v_addc_co_u32_e32 v18, vcc, 0, v18, vcc
	v_cmp_ge_i32_e32 vcc, v20, v27
	v_cmp_ge_i32_e64 s[2:3], v18, v13
	s_or_b64 s[2:3], vcc, s[2:3]
	s_and_b64 s[2:3], exec, s[2:3]
	s_or_b64 s[38:39], s[2:3], s[38:39]
	s_andn2_b64 exec, exec, s[38:39]
	s_cbranch_execz .LBB66_12
.LBB66_10:                              ;   Parent Loop BB66_3 Depth=1
                                        ;     Parent Loop BB66_7 Depth=2
                                        ; =>    This Inner Loop Header: Depth=3
	v_ashrrev_i32_e32 v21, 31, v20
	v_lshl_add_u64 v[30:31], v[20:21], 2, s[16:17]
	v_ashrrev_i32_e32 v19, 31, v18
	global_load_dword v29, v[30:31], off
	v_lshl_add_u64 v[30:31], v[18:19], 2, s[6:7]
	global_load_dword v30, v[30:31], off
	s_waitcnt vmcnt(0)
	v_cmp_eq_u32_e32 vcc, v29, v30
	s_and_saveexec_b64 s[2:3], vcc
	s_cbranch_execz .LBB66_9
; %bb.11:                               ;   in Loop: Header=BB66_10 Depth=3
	v_lshl_add_u64 v[32:33], v[18:19], 2, s[8:9]
	global_load_dword v36, v[32:33], off
	v_lshl_add_u64 v[32:33], v[20:21], 4, s[10:11]
	global_load_dwordx4 v[32:35], v[32:33], off
	s_waitcnt vmcnt(1)
	v_ashrrev_i32_e32 v37, 31, v36
	v_lshl_add_u64 v[36:37], v[36:37], 4, s[10:11]
	global_load_dwordx4 v[36:39], v[36:37], off
	s_waitcnt vmcnt(0)
	v_fmac_f64_e32 v[14:15], v[32:33], v[36:37]
	v_fmac_f64_e32 v[16:17], v[34:35], v[36:37]
	v_fma_f64 v[14:15], -v[34:35], v[38:39], v[14:15]
	v_fmac_f64_e32 v[16:17], v[32:33], v[38:39]
	s_branch .LBB66_9
.LBB66_12:                              ;   in Loop: Header=BB66_7 Depth=2
	s_or_b64 exec, exec, s[38:39]
.LBB66_13:                              ;   in Loop: Header=BB66_7 Depth=2
	s_or_b64 exec, exec, s[36:37]
	s_waitcnt vmcnt(1)
	v_add_f64 v[0:1], v[0:1], -v[14:15]
	v_add_f64 v[2:3], v[2:3], -v[16:17]
	v_cmp_gt_i32_e32 vcc, v8, v12
	s_and_saveexec_b64 s[2:3], vcc
	s_cbranch_execz .LBB66_15
; %bb.14:                               ;   in Loop: Header=BB66_7 Depth=2
	s_waitcnt vmcnt(0)
	v_mul_f64 v[12:13], v[6:7], v[6:7]
	v_fmac_f64_e32 v[12:13], v[4:5], v[4:5]
	v_div_scale_f64 v[14:15], s[36:37], v[12:13], v[12:13], 1.0
	v_rcp_f64_e32 v[16:17], v[14:15]
	v_div_scale_f64 v[18:19], vcc, 1.0, v[12:13], 1.0
	v_fma_f64 v[20:21], -v[14:15], v[16:17], 1.0
	v_fmac_f64_e32 v[16:17], v[16:17], v[20:21]
	v_fma_f64 v[20:21], -v[14:15], v[16:17], 1.0
	v_fmac_f64_e32 v[16:17], v[16:17], v[20:21]
	v_mul_f64 v[20:21], v[18:19], v[16:17]
	v_fma_f64 v[14:15], -v[14:15], v[20:21], v[18:19]
	v_div_fmas_f64 v[14:15], v[14:15], v[16:17], v[20:21]
	v_div_fixup_f64 v[12:13], v[14:15], v[12:13], 1.0
	v_mul_f64 v[14:15], v[6:7], v[2:3]
	v_fmac_f64_e32 v[14:15], v[0:1], v[4:5]
	v_mul_f64 v[0:1], v[6:7], -v[0:1]
	v_mul_f64 v[14:15], v[12:13], v[14:15]
	v_fmac_f64_e32 v[0:1], v[2:3], v[4:5]
	v_mul_f64 v[2:3], v[12:13], v[0:1]
	v_mov_b64_e32 v[0:1], v[14:15]
.LBB66_15:                              ;   in Loop: Header=BB66_7 Depth=2
	s_or_b64 exec, exec, s[2:3]
	s_waitcnt vmcnt(0)
	v_xor_b32_e32 v4, 0x80000000, v1
	v_cmp_gt_f64_e32 vcc, 0, v[0:1]
	v_xor_b32_e32 v6, 0x80000000, v3
                                        ; implicit-def: $vgpr12_vgpr13
	s_nop 0
	v_cndmask_b32_e32 v5, v1, v4, vcc
	v_cmp_gt_f64_e32 vcc, 0, v[2:3]
	v_mov_b32_e32 v4, v0
	s_nop 0
	v_cndmask_b32_e32 v7, v3, v6, vcc
	v_mov_b32_e32 v6, v2
	v_cmp_ngt_f64_e32 vcc, v[4:5], v[6:7]
	s_and_saveexec_b64 s[2:3], vcc
	s_xor_b64 s[2:3], exec, s[2:3]
	s_cbranch_execnz .LBB66_18
; %bb.16:                               ;   in Loop: Header=BB66_7 Depth=2
	s_andn2_saveexec_b64 s[2:3], s[2:3]
	s_cbranch_execnz .LBB66_21
.LBB66_17:                              ;   in Loop: Header=BB66_7 Depth=2
	s_or_b64 exec, exec, s[2:3]
	v_cmp_class_f64_e64 s[36:37], v[12:13], s42
	s_and_saveexec_b64 s[2:3], s[36:37]
	s_cbranch_execz .LBB66_6
	s_branch .LBB66_22
.LBB66_18:                              ;   in Loop: Header=BB66_7 Depth=2
	v_mov_b64_e32 v[12:13], 0
	v_cmp_neq_f64_e32 vcc, 0, v[2:3]
	s_and_saveexec_b64 s[36:37], vcc
	s_cbranch_execz .LBB66_20
; %bb.19:                               ;   in Loop: Header=BB66_7 Depth=2
	v_div_scale_f64 v[12:13], s[38:39], v[6:7], v[6:7], v[4:5]
	v_rcp_f64_e32 v[14:15], v[12:13]
	v_div_scale_f64 v[16:17], vcc, v[4:5], v[6:7], v[4:5]
	v_fma_f64 v[18:19], -v[12:13], v[14:15], 1.0
	v_fmac_f64_e32 v[14:15], v[14:15], v[18:19]
	v_fma_f64 v[18:19], -v[12:13], v[14:15], 1.0
	v_fmac_f64_e32 v[14:15], v[14:15], v[18:19]
	v_mul_f64 v[18:19], v[16:17], v[14:15]
	v_fma_f64 v[12:13], -v[12:13], v[18:19], v[16:17]
	v_div_fmas_f64 v[12:13], v[12:13], v[14:15], v[18:19]
	v_div_fixup_f64 v[4:5], v[12:13], v[6:7], v[4:5]
	v_fma_f64 v[4:5], v[4:5], v[4:5], 1.0
	v_cmp_gt_f64_e32 vcc, s[28:29], v[4:5]
	s_nop 1
	v_cndmask_b32_e32 v12, 0, v25, vcc
	v_ldexp_f64 v[4:5], v[4:5], v12
	v_rsq_f64_e32 v[12:13], v[4:5]
	s_nop 0
	v_mul_f64 v[14:15], v[4:5], v[12:13]
	v_mul_f64 v[12:13], v[12:13], 0.5
	v_fma_f64 v[16:17], -v[12:13], v[14:15], 0.5
	v_fmac_f64_e32 v[14:15], v[14:15], v[16:17]
	v_fma_f64 v[18:19], -v[14:15], v[14:15], v[4:5]
	v_fmac_f64_e32 v[12:13], v[12:13], v[16:17]
	v_fmac_f64_e32 v[14:15], v[18:19], v[12:13]
	v_fma_f64 v[16:17], -v[14:15], v[14:15], v[4:5]
	v_fmac_f64_e32 v[14:15], v[16:17], v[12:13]
	v_cndmask_b32_e32 v12, 0, v26, vcc
	v_ldexp_f64 v[12:13], v[14:15], v12
	v_cmp_class_f64_e32 vcc, v[4:5], v24
	s_nop 1
	v_cndmask_b32_e32 v5, v13, v5, vcc
	v_cndmask_b32_e32 v4, v12, v4, vcc
	v_mul_f64 v[12:13], v[6:7], v[4:5]
.LBB66_20:                              ;   in Loop: Header=BB66_7 Depth=2
	s_or_b64 exec, exec, s[36:37]
                                        ; implicit-def: $vgpr4_vgpr5
                                        ; implicit-def: $vgpr6_vgpr7
	s_andn2_saveexec_b64 s[2:3], s[2:3]
	s_cbranch_execz .LBB66_17
.LBB66_21:                              ;   in Loop: Header=BB66_7 Depth=2
	v_div_scale_f64 v[12:13], s[36:37], v[4:5], v[4:5], v[6:7]
	v_rcp_f64_e32 v[14:15], v[12:13]
	v_div_scale_f64 v[16:17], vcc, v[6:7], v[4:5], v[6:7]
	v_fma_f64 v[18:19], -v[12:13], v[14:15], 1.0
	v_fmac_f64_e32 v[14:15], v[14:15], v[18:19]
	v_fma_f64 v[18:19], -v[12:13], v[14:15], 1.0
	v_fmac_f64_e32 v[14:15], v[14:15], v[18:19]
	v_mul_f64 v[18:19], v[16:17], v[14:15]
	v_fma_f64 v[12:13], -v[12:13], v[18:19], v[16:17]
	v_div_fmas_f64 v[12:13], v[12:13], v[14:15], v[18:19]
	v_div_fixup_f64 v[6:7], v[12:13], v[4:5], v[6:7]
	v_fma_f64 v[6:7], v[6:7], v[6:7], 1.0
	v_cmp_gt_f64_e32 vcc, s[28:29], v[6:7]
	s_nop 1
	v_cndmask_b32_e32 v12, 0, v25, vcc
	v_ldexp_f64 v[6:7], v[6:7], v12
	v_rsq_f64_e32 v[12:13], v[6:7]
	s_nop 0
	v_mul_f64 v[14:15], v[6:7], v[12:13]
	v_mul_f64 v[12:13], v[12:13], 0.5
	v_fma_f64 v[16:17], -v[12:13], v[14:15], 0.5
	v_fmac_f64_e32 v[14:15], v[14:15], v[16:17]
	v_fma_f64 v[18:19], -v[14:15], v[14:15], v[6:7]
	v_fmac_f64_e32 v[12:13], v[12:13], v[16:17]
	v_fmac_f64_e32 v[14:15], v[18:19], v[12:13]
	v_fma_f64 v[16:17], -v[14:15], v[14:15], v[6:7]
	v_fmac_f64_e32 v[14:15], v[16:17], v[12:13]
	v_cndmask_b32_e32 v12, 0, v26, vcc
	v_ldexp_f64 v[12:13], v[14:15], v12
	v_cmp_class_f64_e32 vcc, v[6:7], v24
	s_nop 1
	v_cndmask_b32_e32 v7, v13, v7, vcc
	v_cndmask_b32_e32 v6, v12, v6, vcc
	v_mul_f64 v[12:13], v[4:5], v[6:7]
	s_or_b64 exec, exec, s[2:3]
	v_cmp_class_f64_e64 s[36:37], v[12:13], s42
	s_and_saveexec_b64 s[2:3], s[36:37]
	s_cbranch_execz .LBB66_6
.LBB66_22:                              ;   in Loop: Header=BB66_7 Depth=2
	v_lshl_add_u64 v[4:5], v[10:11], 4, s[10:11]
	global_store_dwordx4 v[4:5], v[0:3], off
	s_branch .LBB66_6
.LBB66_23:
	s_endpgm
	.section	.rodata,"a",@progbits
	.p2align	6, 0x0
	.amdhsa_kernel _ZN9rocsparseL16kernel_calculateILi1024ELi8ELb0E21rocsparse_complex_numIdEiiEEvT4_T3_PKS4_S6_PKS3_PKT2_21rocsparse_index_base_S6_S6_S8_S6_S6_S8_S6_PS9_PNS_15floating_traitsIS9_E6data_tEPKSG_
		.amdhsa_group_segment_fixed_size 0
		.amdhsa_private_segment_fixed_size 0
		.amdhsa_kernarg_size 128
		.amdhsa_user_sgpr_count 2
		.amdhsa_user_sgpr_dispatch_ptr 0
		.amdhsa_user_sgpr_queue_ptr 0
		.amdhsa_user_sgpr_kernarg_segment_ptr 1
		.amdhsa_user_sgpr_dispatch_id 0
		.amdhsa_user_sgpr_kernarg_preload_length 0
		.amdhsa_user_sgpr_kernarg_preload_offset 0
		.amdhsa_user_sgpr_private_segment_size 0
		.amdhsa_uses_dynamic_stack 0
		.amdhsa_enable_private_segment 0
		.amdhsa_system_sgpr_workgroup_id_x 1
		.amdhsa_system_sgpr_workgroup_id_y 0
		.amdhsa_system_sgpr_workgroup_id_z 0
		.amdhsa_system_sgpr_workgroup_info 0
		.amdhsa_system_vgpr_workitem_id 0
		.amdhsa_next_free_vgpr 40
		.amdhsa_next_free_sgpr 43
		.amdhsa_accum_offset 40
		.amdhsa_reserve_vcc 1
		.amdhsa_float_round_mode_32 0
		.amdhsa_float_round_mode_16_64 0
		.amdhsa_float_denorm_mode_32 3
		.amdhsa_float_denorm_mode_16_64 3
		.amdhsa_dx10_clamp 1
		.amdhsa_ieee_mode 1
		.amdhsa_fp16_overflow 0
		.amdhsa_tg_split 0
		.amdhsa_exception_fp_ieee_invalid_op 0
		.amdhsa_exception_fp_denorm_src 0
		.amdhsa_exception_fp_ieee_div_zero 0
		.amdhsa_exception_fp_ieee_overflow 0
		.amdhsa_exception_fp_ieee_underflow 0
		.amdhsa_exception_fp_ieee_inexact 0
		.amdhsa_exception_int_div_zero 0
	.end_amdhsa_kernel
	.section	.text._ZN9rocsparseL16kernel_calculateILi1024ELi8ELb0E21rocsparse_complex_numIdEiiEEvT4_T3_PKS4_S6_PKS3_PKT2_21rocsparse_index_base_S6_S6_S8_S6_S6_S8_S6_PS9_PNS_15floating_traitsIS9_E6data_tEPKSG_,"axG",@progbits,_ZN9rocsparseL16kernel_calculateILi1024ELi8ELb0E21rocsparse_complex_numIdEiiEEvT4_T3_PKS4_S6_PKS3_PKT2_21rocsparse_index_base_S6_S6_S8_S6_S6_S8_S6_PS9_PNS_15floating_traitsIS9_E6data_tEPKSG_,comdat
.Lfunc_end66:
	.size	_ZN9rocsparseL16kernel_calculateILi1024ELi8ELb0E21rocsparse_complex_numIdEiiEEvT4_T3_PKS4_S6_PKS3_PKT2_21rocsparse_index_base_S6_S6_S8_S6_S6_S8_S6_PS9_PNS_15floating_traitsIS9_E6data_tEPKSG_, .Lfunc_end66-_ZN9rocsparseL16kernel_calculateILi1024ELi8ELb0E21rocsparse_complex_numIdEiiEEvT4_T3_PKS4_S6_PKS3_PKT2_21rocsparse_index_base_S6_S6_S8_S6_S6_S8_S6_PS9_PNS_15floating_traitsIS9_E6data_tEPKSG_
                                        ; -- End function
	.set _ZN9rocsparseL16kernel_calculateILi1024ELi8ELb0E21rocsparse_complex_numIdEiiEEvT4_T3_PKS4_S6_PKS3_PKT2_21rocsparse_index_base_S6_S6_S8_S6_S6_S8_S6_PS9_PNS_15floating_traitsIS9_E6data_tEPKSG_.num_vgpr, 40
	.set _ZN9rocsparseL16kernel_calculateILi1024ELi8ELb0E21rocsparse_complex_numIdEiiEEvT4_T3_PKS4_S6_PKS3_PKT2_21rocsparse_index_base_S6_S6_S8_S6_S6_S8_S6_PS9_PNS_15floating_traitsIS9_E6data_tEPKSG_.num_agpr, 0
	.set _ZN9rocsparseL16kernel_calculateILi1024ELi8ELb0E21rocsparse_complex_numIdEiiEEvT4_T3_PKS4_S6_PKS3_PKT2_21rocsparse_index_base_S6_S6_S8_S6_S6_S8_S6_PS9_PNS_15floating_traitsIS9_E6data_tEPKSG_.numbered_sgpr, 43
	.set _ZN9rocsparseL16kernel_calculateILi1024ELi8ELb0E21rocsparse_complex_numIdEiiEEvT4_T3_PKS4_S6_PKS3_PKT2_21rocsparse_index_base_S6_S6_S8_S6_S6_S8_S6_PS9_PNS_15floating_traitsIS9_E6data_tEPKSG_.num_named_barrier, 0
	.set _ZN9rocsparseL16kernel_calculateILi1024ELi8ELb0E21rocsparse_complex_numIdEiiEEvT4_T3_PKS4_S6_PKS3_PKT2_21rocsparse_index_base_S6_S6_S8_S6_S6_S8_S6_PS9_PNS_15floating_traitsIS9_E6data_tEPKSG_.private_seg_size, 0
	.set _ZN9rocsparseL16kernel_calculateILi1024ELi8ELb0E21rocsparse_complex_numIdEiiEEvT4_T3_PKS4_S6_PKS3_PKT2_21rocsparse_index_base_S6_S6_S8_S6_S6_S8_S6_PS9_PNS_15floating_traitsIS9_E6data_tEPKSG_.uses_vcc, 1
	.set _ZN9rocsparseL16kernel_calculateILi1024ELi8ELb0E21rocsparse_complex_numIdEiiEEvT4_T3_PKS4_S6_PKS3_PKT2_21rocsparse_index_base_S6_S6_S8_S6_S6_S8_S6_PS9_PNS_15floating_traitsIS9_E6data_tEPKSG_.uses_flat_scratch, 0
	.set _ZN9rocsparseL16kernel_calculateILi1024ELi8ELb0E21rocsparse_complex_numIdEiiEEvT4_T3_PKS4_S6_PKS3_PKT2_21rocsparse_index_base_S6_S6_S8_S6_S6_S8_S6_PS9_PNS_15floating_traitsIS9_E6data_tEPKSG_.has_dyn_sized_stack, 0
	.set _ZN9rocsparseL16kernel_calculateILi1024ELi8ELb0E21rocsparse_complex_numIdEiiEEvT4_T3_PKS4_S6_PKS3_PKT2_21rocsparse_index_base_S6_S6_S8_S6_S6_S8_S6_PS9_PNS_15floating_traitsIS9_E6data_tEPKSG_.has_recursion, 0
	.set _ZN9rocsparseL16kernel_calculateILi1024ELi8ELb0E21rocsparse_complex_numIdEiiEEvT4_T3_PKS4_S6_PKS3_PKT2_21rocsparse_index_base_S6_S6_S8_S6_S6_S8_S6_PS9_PNS_15floating_traitsIS9_E6data_tEPKSG_.has_indirect_call, 0
	.section	.AMDGPU.csdata,"",@progbits
; Kernel info:
; codeLenInByte = 1468
; TotalNumSgprs: 49
; NumVgprs: 40
; NumAgprs: 0
; TotalNumVgprs: 40
; ScratchSize: 0
; MemoryBound: 1
; FloatMode: 240
; IeeeMode: 1
; LDSByteSize: 0 bytes/workgroup (compile time only)
; SGPRBlocks: 6
; VGPRBlocks: 4
; NumSGPRsForWavesPerEU: 49
; NumVGPRsForWavesPerEU: 40
; AccumOffset: 40
; Occupancy: 8
; WaveLimiterHint : 1
; COMPUTE_PGM_RSRC2:SCRATCH_EN: 0
; COMPUTE_PGM_RSRC2:USER_SGPR: 2
; COMPUTE_PGM_RSRC2:TRAP_HANDLER: 0
; COMPUTE_PGM_RSRC2:TGID_X_EN: 1
; COMPUTE_PGM_RSRC2:TGID_Y_EN: 0
; COMPUTE_PGM_RSRC2:TGID_Z_EN: 0
; COMPUTE_PGM_RSRC2:TIDIG_COMP_CNT: 0
; COMPUTE_PGM_RSRC3_GFX90A:ACCUM_OFFSET: 9
; COMPUTE_PGM_RSRC3_GFX90A:TG_SPLIT: 0
	.section	.text._ZN9rocsparseL16kernel_calculateILi1024ELi16ELb0E21rocsparse_complex_numIdEiiEEvT4_T3_PKS4_S6_PKS3_PKT2_21rocsparse_index_base_S6_S6_S8_S6_S6_S8_S6_PS9_PNS_15floating_traitsIS9_E6data_tEPKSG_,"axG",@progbits,_ZN9rocsparseL16kernel_calculateILi1024ELi16ELb0E21rocsparse_complex_numIdEiiEEvT4_T3_PKS4_S6_PKS3_PKT2_21rocsparse_index_base_S6_S6_S8_S6_S6_S8_S6_PS9_PNS_15floating_traitsIS9_E6data_tEPKSG_,comdat
	.globl	_ZN9rocsparseL16kernel_calculateILi1024ELi16ELb0E21rocsparse_complex_numIdEiiEEvT4_T3_PKS4_S6_PKS3_PKT2_21rocsparse_index_base_S6_S6_S8_S6_S6_S8_S6_PS9_PNS_15floating_traitsIS9_E6data_tEPKSG_ ; -- Begin function _ZN9rocsparseL16kernel_calculateILi1024ELi16ELb0E21rocsparse_complex_numIdEiiEEvT4_T3_PKS4_S6_PKS3_PKT2_21rocsparse_index_base_S6_S6_S8_S6_S6_S8_S6_PS9_PNS_15floating_traitsIS9_E6data_tEPKSG_
	.p2align	8
	.type	_ZN9rocsparseL16kernel_calculateILi1024ELi16ELb0E21rocsparse_complex_numIdEiiEEvT4_T3_PKS4_S6_PKS3_PKT2_21rocsparse_index_base_S6_S6_S8_S6_S6_S8_S6_PS9_PNS_15floating_traitsIS9_E6data_tEPKSG_,@function
_ZN9rocsparseL16kernel_calculateILi1024ELi16ELb0E21rocsparse_complex_numIdEiiEEvT4_T3_PKS4_S6_PKS3_PKT2_21rocsparse_index_base_S6_S6_S8_S6_S6_S8_S6_PS9_PNS_15floating_traitsIS9_E6data_tEPKSG_: ; @_ZN9rocsparseL16kernel_calculateILi1024ELi16ELb0E21rocsparse_complex_numIdEiiEEvT4_T3_PKS4_S6_PKS3_PKT2_21rocsparse_index_base_S6_S6_S8_S6_S6_S8_S6_PS9_PNS_15floating_traitsIS9_E6data_tEPKSG_
; %bb.0:
	s_load_dword s33, s[0:1], 0x0
	v_lshrrev_b32_e32 v1, 4, v0
	v_lshl_or_b32 v22, s2, 10, v1
	s_waitcnt lgkmcnt(0)
	v_cmp_gt_i32_e32 vcc, s33, v22
	s_and_saveexec_b64 s[2:3], vcc
	s_cbranch_execz .LBB67_23
; %bb.1:
	s_load_dword s40, s[0:1], 0x28
	s_load_dwordx8 s[4:11], s[0:1], 0x50
	s_load_dwordx8 s[12:19], s[0:1], 0x30
	;; [unrolled: 1-line block ×3, first 2 shown]
	v_and_b32_e32 v0, 15, v0
	s_mov_b32 s28, 0
	s_waitcnt lgkmcnt(0)
	v_subrev_u32_e32 v23, s40, v0
	s_mov_b32 s41, 0
	s_brev_b32 s29, 8
	v_mov_b32_e32 v24, 0x260
	s_movk_i32 s42, 0x1f8
	v_mov_b32_e32 v25, 0x100
	v_mov_b32_e32 v26, 0xffffff80
	s_branch .LBB67_3
.LBB67_2:                               ;   in Loop: Header=BB67_3 Depth=1
	s_or_b64 exec, exec, s[30:31]
	s_add_i32 s41, s41, 1
	s_cmp_lg_u32 s41, 16
	s_cbranch_scc0 .LBB67_23
.LBB67_3:                               ; =>This Loop Header: Depth=1
                                        ;     Child Loop BB67_7 Depth 2
                                        ;       Child Loop BB67_10 Depth 3
	v_lshl_add_u32 v8, s41, 6, v22
	v_cmp_gt_i32_e32 vcc, s33, v8
	s_and_saveexec_b64 s[30:31], vcc
	s_cbranch_execz .LBB67_2
; %bb.4:                                ;   in Loop: Header=BB67_3 Depth=1
	v_ashrrev_i32_e32 v9, 31, v8
	v_lshlrev_b64 v[0:1], 2, v[8:9]
	v_lshl_add_u64 v[2:3], s[22:23], 0, v[0:1]
	global_load_dword v4, v[2:3], off
	v_lshl_add_u64 v[2:3], s[20:21], 0, v[0:1]
	global_load_dword v2, v[2:3], off
	s_waitcnt vmcnt(1)
	v_subrev_u32_e32 v9, s40, v4
	s_waitcnt vmcnt(0)
	v_add_u32_e32 v10, v23, v2
	v_cmp_lt_i32_e32 vcc, v10, v9
	s_and_b64 exec, exec, vcc
	s_cbranch_execz .LBB67_2
; %bb.5:                                ;   in Loop: Header=BB67_3 Depth=1
	v_lshl_add_u64 v[2:3], s[14:15], 0, v[0:1]
	v_lshl_add_u64 v[0:1], s[12:13], 0, v[0:1]
	global_load_dword v2, v[2:3], off
	s_mov_b64 s[34:35], 0
	global_load_dword v0, v[0:1], off
	s_waitcnt vmcnt(1)
	v_subrev_u32_e32 v27, s40, v2
	s_waitcnt vmcnt(0)
	v_cmp_lt_i32_e64 s[0:1], v0, v2
	v_subrev_u32_e32 v28, s40, v0
	s_branch .LBB67_7
.LBB67_6:                               ;   in Loop: Header=BB67_7 Depth=2
	s_or_b64 exec, exec, s[2:3]
	v_add_u32_e32 v10, 16, v10
	v_cmp_ge_i32_e32 vcc, v10, v9
	s_or_b64 s[34:35], vcc, s[34:35]
	s_andn2_b64 exec, exec, s[34:35]
	s_cbranch_execz .LBB67_2
.LBB67_7:                               ;   Parent Loop BB67_3 Depth=1
                                        ; =>  This Loop Header: Depth=2
                                        ;       Child Loop BB67_10 Depth 3
	v_ashrrev_i32_e32 v11, 31, v10
	v_lshl_add_u64 v[0:1], v[10:11], 2, s[24:25]
	global_load_dword v0, v[0:1], off
	v_mov_b64_e32 v[16:17], 0
	s_waitcnt vmcnt(0)
	v_subrev_u32_e32 v12, s40, v0
	v_ashrrev_i32_e32 v13, 31, v12
	v_lshlrev_b64 v[4:5], 2, v[12:13]
	v_lshl_add_u64 v[0:1], s[14:15], 0, v[4:5]
	global_load_dword v14, v[0:1], off
	v_lshl_add_u64 v[6:7], s[4:5], 0, v[4:5]
	v_lshl_add_u64 v[4:5], s[18:19], 0, v[4:5]
	global_load_dword v18, v[4:5], off
	global_load_dword v13, v[6:7], off
	v_lshl_add_u64 v[0:1], v[10:11], 4, s[26:27]
	global_load_dwordx4 v[0:3], v[0:1], off
	s_waitcnt vmcnt(3)
	v_subrev_u32_e32 v4, s40, v14
	v_ashrrev_i32_e32 v5, 31, v4
	v_lshl_add_u64 v[4:5], v[4:5], 4, s[10:11]
	global_load_dwordx4 v[4:7], v[4:5], off
	s_waitcnt vmcnt(2)
	v_cmp_lt_i32_e32 vcc, v18, v13
	s_and_b64 s[2:3], s[0:1], vcc
	v_mov_b64_e32 v[14:15], 0
	s_and_saveexec_b64 s[36:37], s[2:3]
	s_cbranch_execz .LBB67_13
; %bb.8:                                ;   in Loop: Header=BB67_7 Depth=2
	v_subrev_u32_e32 v13, s40, v13
	v_subrev_u32_e32 v18, s40, v18
	v_mov_b64_e32 v[14:15], 0
	s_mov_b64 s[38:39], 0
	v_mov_b32_e32 v20, v28
	v_mov_b64_e32 v[16:17], 0
	s_branch .LBB67_10
.LBB67_9:                               ;   in Loop: Header=BB67_10 Depth=3
	s_or_b64 exec, exec, s[2:3]
	v_cmp_le_i32_e32 vcc, v29, v30
	s_nop 1
	v_addc_co_u32_e32 v20, vcc, 0, v20, vcc
	v_cmp_ge_i32_e32 vcc, v29, v30
	s_nop 1
	v_addc_co_u32_e32 v18, vcc, 0, v18, vcc
	v_cmp_ge_i32_e32 vcc, v20, v27
	v_cmp_ge_i32_e64 s[2:3], v18, v13
	s_or_b64 s[2:3], vcc, s[2:3]
	s_and_b64 s[2:3], exec, s[2:3]
	s_or_b64 s[38:39], s[2:3], s[38:39]
	s_andn2_b64 exec, exec, s[38:39]
	s_cbranch_execz .LBB67_12
.LBB67_10:                              ;   Parent Loop BB67_3 Depth=1
                                        ;     Parent Loop BB67_7 Depth=2
                                        ; =>    This Inner Loop Header: Depth=3
	v_ashrrev_i32_e32 v21, 31, v20
	v_lshl_add_u64 v[30:31], v[20:21], 2, s[16:17]
	v_ashrrev_i32_e32 v19, 31, v18
	global_load_dword v29, v[30:31], off
	v_lshl_add_u64 v[30:31], v[18:19], 2, s[6:7]
	global_load_dword v30, v[30:31], off
	s_waitcnt vmcnt(0)
	v_cmp_eq_u32_e32 vcc, v29, v30
	s_and_saveexec_b64 s[2:3], vcc
	s_cbranch_execz .LBB67_9
; %bb.11:                               ;   in Loop: Header=BB67_10 Depth=3
	v_lshl_add_u64 v[32:33], v[18:19], 2, s[8:9]
	global_load_dword v36, v[32:33], off
	v_lshl_add_u64 v[32:33], v[20:21], 4, s[10:11]
	global_load_dwordx4 v[32:35], v[32:33], off
	s_waitcnt vmcnt(1)
	v_ashrrev_i32_e32 v37, 31, v36
	v_lshl_add_u64 v[36:37], v[36:37], 4, s[10:11]
	global_load_dwordx4 v[36:39], v[36:37], off
	s_waitcnt vmcnt(0)
	v_fmac_f64_e32 v[14:15], v[32:33], v[36:37]
	v_fmac_f64_e32 v[16:17], v[34:35], v[36:37]
	v_fma_f64 v[14:15], -v[34:35], v[38:39], v[14:15]
	v_fmac_f64_e32 v[16:17], v[32:33], v[38:39]
	s_branch .LBB67_9
.LBB67_12:                              ;   in Loop: Header=BB67_7 Depth=2
	s_or_b64 exec, exec, s[38:39]
.LBB67_13:                              ;   in Loop: Header=BB67_7 Depth=2
	s_or_b64 exec, exec, s[36:37]
	s_waitcnt vmcnt(1)
	v_add_f64 v[0:1], v[0:1], -v[14:15]
	v_add_f64 v[2:3], v[2:3], -v[16:17]
	v_cmp_gt_i32_e32 vcc, v8, v12
	s_and_saveexec_b64 s[2:3], vcc
	s_cbranch_execz .LBB67_15
; %bb.14:                               ;   in Loop: Header=BB67_7 Depth=2
	s_waitcnt vmcnt(0)
	v_mul_f64 v[12:13], v[6:7], v[6:7]
	v_fmac_f64_e32 v[12:13], v[4:5], v[4:5]
	v_div_scale_f64 v[14:15], s[36:37], v[12:13], v[12:13], 1.0
	v_rcp_f64_e32 v[16:17], v[14:15]
	v_div_scale_f64 v[18:19], vcc, 1.0, v[12:13], 1.0
	v_fma_f64 v[20:21], -v[14:15], v[16:17], 1.0
	v_fmac_f64_e32 v[16:17], v[16:17], v[20:21]
	v_fma_f64 v[20:21], -v[14:15], v[16:17], 1.0
	v_fmac_f64_e32 v[16:17], v[16:17], v[20:21]
	v_mul_f64 v[20:21], v[18:19], v[16:17]
	v_fma_f64 v[14:15], -v[14:15], v[20:21], v[18:19]
	v_div_fmas_f64 v[14:15], v[14:15], v[16:17], v[20:21]
	v_div_fixup_f64 v[12:13], v[14:15], v[12:13], 1.0
	v_mul_f64 v[14:15], v[6:7], v[2:3]
	v_fmac_f64_e32 v[14:15], v[0:1], v[4:5]
	v_mul_f64 v[0:1], v[6:7], -v[0:1]
	v_mul_f64 v[14:15], v[12:13], v[14:15]
	v_fmac_f64_e32 v[0:1], v[2:3], v[4:5]
	v_mul_f64 v[2:3], v[12:13], v[0:1]
	v_mov_b64_e32 v[0:1], v[14:15]
.LBB67_15:                              ;   in Loop: Header=BB67_7 Depth=2
	s_or_b64 exec, exec, s[2:3]
	s_waitcnt vmcnt(0)
	v_xor_b32_e32 v4, 0x80000000, v1
	v_cmp_gt_f64_e32 vcc, 0, v[0:1]
	v_xor_b32_e32 v6, 0x80000000, v3
                                        ; implicit-def: $vgpr12_vgpr13
	s_nop 0
	v_cndmask_b32_e32 v5, v1, v4, vcc
	v_cmp_gt_f64_e32 vcc, 0, v[2:3]
	v_mov_b32_e32 v4, v0
	s_nop 0
	v_cndmask_b32_e32 v7, v3, v6, vcc
	v_mov_b32_e32 v6, v2
	v_cmp_ngt_f64_e32 vcc, v[4:5], v[6:7]
	s_and_saveexec_b64 s[2:3], vcc
	s_xor_b64 s[2:3], exec, s[2:3]
	s_cbranch_execnz .LBB67_18
; %bb.16:                               ;   in Loop: Header=BB67_7 Depth=2
	s_andn2_saveexec_b64 s[2:3], s[2:3]
	s_cbranch_execnz .LBB67_21
.LBB67_17:                              ;   in Loop: Header=BB67_7 Depth=2
	s_or_b64 exec, exec, s[2:3]
	v_cmp_class_f64_e64 s[36:37], v[12:13], s42
	s_and_saveexec_b64 s[2:3], s[36:37]
	s_cbranch_execz .LBB67_6
	s_branch .LBB67_22
.LBB67_18:                              ;   in Loop: Header=BB67_7 Depth=2
	v_mov_b64_e32 v[12:13], 0
	v_cmp_neq_f64_e32 vcc, 0, v[2:3]
	s_and_saveexec_b64 s[36:37], vcc
	s_cbranch_execz .LBB67_20
; %bb.19:                               ;   in Loop: Header=BB67_7 Depth=2
	v_div_scale_f64 v[12:13], s[38:39], v[6:7], v[6:7], v[4:5]
	v_rcp_f64_e32 v[14:15], v[12:13]
	v_div_scale_f64 v[16:17], vcc, v[4:5], v[6:7], v[4:5]
	v_fma_f64 v[18:19], -v[12:13], v[14:15], 1.0
	v_fmac_f64_e32 v[14:15], v[14:15], v[18:19]
	v_fma_f64 v[18:19], -v[12:13], v[14:15], 1.0
	v_fmac_f64_e32 v[14:15], v[14:15], v[18:19]
	v_mul_f64 v[18:19], v[16:17], v[14:15]
	v_fma_f64 v[12:13], -v[12:13], v[18:19], v[16:17]
	v_div_fmas_f64 v[12:13], v[12:13], v[14:15], v[18:19]
	v_div_fixup_f64 v[4:5], v[12:13], v[6:7], v[4:5]
	v_fma_f64 v[4:5], v[4:5], v[4:5], 1.0
	v_cmp_gt_f64_e32 vcc, s[28:29], v[4:5]
	s_nop 1
	v_cndmask_b32_e32 v12, 0, v25, vcc
	v_ldexp_f64 v[4:5], v[4:5], v12
	v_rsq_f64_e32 v[12:13], v[4:5]
	s_nop 0
	v_mul_f64 v[14:15], v[4:5], v[12:13]
	v_mul_f64 v[12:13], v[12:13], 0.5
	v_fma_f64 v[16:17], -v[12:13], v[14:15], 0.5
	v_fmac_f64_e32 v[14:15], v[14:15], v[16:17]
	v_fma_f64 v[18:19], -v[14:15], v[14:15], v[4:5]
	v_fmac_f64_e32 v[12:13], v[12:13], v[16:17]
	v_fmac_f64_e32 v[14:15], v[18:19], v[12:13]
	v_fma_f64 v[16:17], -v[14:15], v[14:15], v[4:5]
	v_fmac_f64_e32 v[14:15], v[16:17], v[12:13]
	v_cndmask_b32_e32 v12, 0, v26, vcc
	v_ldexp_f64 v[12:13], v[14:15], v12
	v_cmp_class_f64_e32 vcc, v[4:5], v24
	s_nop 1
	v_cndmask_b32_e32 v5, v13, v5, vcc
	v_cndmask_b32_e32 v4, v12, v4, vcc
	v_mul_f64 v[12:13], v[6:7], v[4:5]
.LBB67_20:                              ;   in Loop: Header=BB67_7 Depth=2
	s_or_b64 exec, exec, s[36:37]
                                        ; implicit-def: $vgpr4_vgpr5
                                        ; implicit-def: $vgpr6_vgpr7
	s_andn2_saveexec_b64 s[2:3], s[2:3]
	s_cbranch_execz .LBB67_17
.LBB67_21:                              ;   in Loop: Header=BB67_7 Depth=2
	v_div_scale_f64 v[12:13], s[36:37], v[4:5], v[4:5], v[6:7]
	v_rcp_f64_e32 v[14:15], v[12:13]
	v_div_scale_f64 v[16:17], vcc, v[6:7], v[4:5], v[6:7]
	v_fma_f64 v[18:19], -v[12:13], v[14:15], 1.0
	v_fmac_f64_e32 v[14:15], v[14:15], v[18:19]
	v_fma_f64 v[18:19], -v[12:13], v[14:15], 1.0
	v_fmac_f64_e32 v[14:15], v[14:15], v[18:19]
	v_mul_f64 v[18:19], v[16:17], v[14:15]
	v_fma_f64 v[12:13], -v[12:13], v[18:19], v[16:17]
	v_div_fmas_f64 v[12:13], v[12:13], v[14:15], v[18:19]
	v_div_fixup_f64 v[6:7], v[12:13], v[4:5], v[6:7]
	v_fma_f64 v[6:7], v[6:7], v[6:7], 1.0
	v_cmp_gt_f64_e32 vcc, s[28:29], v[6:7]
	s_nop 1
	v_cndmask_b32_e32 v12, 0, v25, vcc
	v_ldexp_f64 v[6:7], v[6:7], v12
	v_rsq_f64_e32 v[12:13], v[6:7]
	s_nop 0
	v_mul_f64 v[14:15], v[6:7], v[12:13]
	v_mul_f64 v[12:13], v[12:13], 0.5
	v_fma_f64 v[16:17], -v[12:13], v[14:15], 0.5
	v_fmac_f64_e32 v[14:15], v[14:15], v[16:17]
	v_fma_f64 v[18:19], -v[14:15], v[14:15], v[6:7]
	v_fmac_f64_e32 v[12:13], v[12:13], v[16:17]
	v_fmac_f64_e32 v[14:15], v[18:19], v[12:13]
	v_fma_f64 v[16:17], -v[14:15], v[14:15], v[6:7]
	v_fmac_f64_e32 v[14:15], v[16:17], v[12:13]
	v_cndmask_b32_e32 v12, 0, v26, vcc
	v_ldexp_f64 v[12:13], v[14:15], v12
	v_cmp_class_f64_e32 vcc, v[6:7], v24
	s_nop 1
	v_cndmask_b32_e32 v7, v13, v7, vcc
	v_cndmask_b32_e32 v6, v12, v6, vcc
	v_mul_f64 v[12:13], v[4:5], v[6:7]
	s_or_b64 exec, exec, s[2:3]
	v_cmp_class_f64_e64 s[36:37], v[12:13], s42
	s_and_saveexec_b64 s[2:3], s[36:37]
	s_cbranch_execz .LBB67_6
.LBB67_22:                              ;   in Loop: Header=BB67_7 Depth=2
	v_lshl_add_u64 v[4:5], v[10:11], 4, s[10:11]
	global_store_dwordx4 v[4:5], v[0:3], off
	s_branch .LBB67_6
.LBB67_23:
	s_endpgm
	.section	.rodata,"a",@progbits
	.p2align	6, 0x0
	.amdhsa_kernel _ZN9rocsparseL16kernel_calculateILi1024ELi16ELb0E21rocsparse_complex_numIdEiiEEvT4_T3_PKS4_S6_PKS3_PKT2_21rocsparse_index_base_S6_S6_S8_S6_S6_S8_S6_PS9_PNS_15floating_traitsIS9_E6data_tEPKSG_
		.amdhsa_group_segment_fixed_size 0
		.amdhsa_private_segment_fixed_size 0
		.amdhsa_kernarg_size 128
		.amdhsa_user_sgpr_count 2
		.amdhsa_user_sgpr_dispatch_ptr 0
		.amdhsa_user_sgpr_queue_ptr 0
		.amdhsa_user_sgpr_kernarg_segment_ptr 1
		.amdhsa_user_sgpr_dispatch_id 0
		.amdhsa_user_sgpr_kernarg_preload_length 0
		.amdhsa_user_sgpr_kernarg_preload_offset 0
		.amdhsa_user_sgpr_private_segment_size 0
		.amdhsa_uses_dynamic_stack 0
		.amdhsa_enable_private_segment 0
		.amdhsa_system_sgpr_workgroup_id_x 1
		.amdhsa_system_sgpr_workgroup_id_y 0
		.amdhsa_system_sgpr_workgroup_id_z 0
		.amdhsa_system_sgpr_workgroup_info 0
		.amdhsa_system_vgpr_workitem_id 0
		.amdhsa_next_free_vgpr 40
		.amdhsa_next_free_sgpr 43
		.amdhsa_accum_offset 40
		.amdhsa_reserve_vcc 1
		.amdhsa_float_round_mode_32 0
		.amdhsa_float_round_mode_16_64 0
		.amdhsa_float_denorm_mode_32 3
		.amdhsa_float_denorm_mode_16_64 3
		.amdhsa_dx10_clamp 1
		.amdhsa_ieee_mode 1
		.amdhsa_fp16_overflow 0
		.amdhsa_tg_split 0
		.amdhsa_exception_fp_ieee_invalid_op 0
		.amdhsa_exception_fp_denorm_src 0
		.amdhsa_exception_fp_ieee_div_zero 0
		.amdhsa_exception_fp_ieee_overflow 0
		.amdhsa_exception_fp_ieee_underflow 0
		.amdhsa_exception_fp_ieee_inexact 0
		.amdhsa_exception_int_div_zero 0
	.end_amdhsa_kernel
	.section	.text._ZN9rocsparseL16kernel_calculateILi1024ELi16ELb0E21rocsparse_complex_numIdEiiEEvT4_T3_PKS4_S6_PKS3_PKT2_21rocsparse_index_base_S6_S6_S8_S6_S6_S8_S6_PS9_PNS_15floating_traitsIS9_E6data_tEPKSG_,"axG",@progbits,_ZN9rocsparseL16kernel_calculateILi1024ELi16ELb0E21rocsparse_complex_numIdEiiEEvT4_T3_PKS4_S6_PKS3_PKT2_21rocsparse_index_base_S6_S6_S8_S6_S6_S8_S6_PS9_PNS_15floating_traitsIS9_E6data_tEPKSG_,comdat
.Lfunc_end67:
	.size	_ZN9rocsparseL16kernel_calculateILi1024ELi16ELb0E21rocsparse_complex_numIdEiiEEvT4_T3_PKS4_S6_PKS3_PKT2_21rocsparse_index_base_S6_S6_S8_S6_S6_S8_S6_PS9_PNS_15floating_traitsIS9_E6data_tEPKSG_, .Lfunc_end67-_ZN9rocsparseL16kernel_calculateILi1024ELi16ELb0E21rocsparse_complex_numIdEiiEEvT4_T3_PKS4_S6_PKS3_PKT2_21rocsparse_index_base_S6_S6_S8_S6_S6_S8_S6_PS9_PNS_15floating_traitsIS9_E6data_tEPKSG_
                                        ; -- End function
	.set _ZN9rocsparseL16kernel_calculateILi1024ELi16ELb0E21rocsparse_complex_numIdEiiEEvT4_T3_PKS4_S6_PKS3_PKT2_21rocsparse_index_base_S6_S6_S8_S6_S6_S8_S6_PS9_PNS_15floating_traitsIS9_E6data_tEPKSG_.num_vgpr, 40
	.set _ZN9rocsparseL16kernel_calculateILi1024ELi16ELb0E21rocsparse_complex_numIdEiiEEvT4_T3_PKS4_S6_PKS3_PKT2_21rocsparse_index_base_S6_S6_S8_S6_S6_S8_S6_PS9_PNS_15floating_traitsIS9_E6data_tEPKSG_.num_agpr, 0
	.set _ZN9rocsparseL16kernel_calculateILi1024ELi16ELb0E21rocsparse_complex_numIdEiiEEvT4_T3_PKS4_S6_PKS3_PKT2_21rocsparse_index_base_S6_S6_S8_S6_S6_S8_S6_PS9_PNS_15floating_traitsIS9_E6data_tEPKSG_.numbered_sgpr, 43
	.set _ZN9rocsparseL16kernel_calculateILi1024ELi16ELb0E21rocsparse_complex_numIdEiiEEvT4_T3_PKS4_S6_PKS3_PKT2_21rocsparse_index_base_S6_S6_S8_S6_S6_S8_S6_PS9_PNS_15floating_traitsIS9_E6data_tEPKSG_.num_named_barrier, 0
	.set _ZN9rocsparseL16kernel_calculateILi1024ELi16ELb0E21rocsparse_complex_numIdEiiEEvT4_T3_PKS4_S6_PKS3_PKT2_21rocsparse_index_base_S6_S6_S8_S6_S6_S8_S6_PS9_PNS_15floating_traitsIS9_E6data_tEPKSG_.private_seg_size, 0
	.set _ZN9rocsparseL16kernel_calculateILi1024ELi16ELb0E21rocsparse_complex_numIdEiiEEvT4_T3_PKS4_S6_PKS3_PKT2_21rocsparse_index_base_S6_S6_S8_S6_S6_S8_S6_PS9_PNS_15floating_traitsIS9_E6data_tEPKSG_.uses_vcc, 1
	.set _ZN9rocsparseL16kernel_calculateILi1024ELi16ELb0E21rocsparse_complex_numIdEiiEEvT4_T3_PKS4_S6_PKS3_PKT2_21rocsparse_index_base_S6_S6_S8_S6_S6_S8_S6_PS9_PNS_15floating_traitsIS9_E6data_tEPKSG_.uses_flat_scratch, 0
	.set _ZN9rocsparseL16kernel_calculateILi1024ELi16ELb0E21rocsparse_complex_numIdEiiEEvT4_T3_PKS4_S6_PKS3_PKT2_21rocsparse_index_base_S6_S6_S8_S6_S6_S8_S6_PS9_PNS_15floating_traitsIS9_E6data_tEPKSG_.has_dyn_sized_stack, 0
	.set _ZN9rocsparseL16kernel_calculateILi1024ELi16ELb0E21rocsparse_complex_numIdEiiEEvT4_T3_PKS4_S6_PKS3_PKT2_21rocsparse_index_base_S6_S6_S8_S6_S6_S8_S6_PS9_PNS_15floating_traitsIS9_E6data_tEPKSG_.has_recursion, 0
	.set _ZN9rocsparseL16kernel_calculateILi1024ELi16ELb0E21rocsparse_complex_numIdEiiEEvT4_T3_PKS4_S6_PKS3_PKT2_21rocsparse_index_base_S6_S6_S8_S6_S6_S8_S6_PS9_PNS_15floating_traitsIS9_E6data_tEPKSG_.has_indirect_call, 0
	.section	.AMDGPU.csdata,"",@progbits
; Kernel info:
; codeLenInByte = 1468
; TotalNumSgprs: 49
; NumVgprs: 40
; NumAgprs: 0
; TotalNumVgprs: 40
; ScratchSize: 0
; MemoryBound: 1
; FloatMode: 240
; IeeeMode: 1
; LDSByteSize: 0 bytes/workgroup (compile time only)
; SGPRBlocks: 6
; VGPRBlocks: 4
; NumSGPRsForWavesPerEU: 49
; NumVGPRsForWavesPerEU: 40
; AccumOffset: 40
; Occupancy: 8
; WaveLimiterHint : 1
; COMPUTE_PGM_RSRC2:SCRATCH_EN: 0
; COMPUTE_PGM_RSRC2:USER_SGPR: 2
; COMPUTE_PGM_RSRC2:TRAP_HANDLER: 0
; COMPUTE_PGM_RSRC2:TGID_X_EN: 1
; COMPUTE_PGM_RSRC2:TGID_Y_EN: 0
; COMPUTE_PGM_RSRC2:TGID_Z_EN: 0
; COMPUTE_PGM_RSRC2:TIDIG_COMP_CNT: 0
; COMPUTE_PGM_RSRC3_GFX90A:ACCUM_OFFSET: 9
; COMPUTE_PGM_RSRC3_GFX90A:TG_SPLIT: 0
	.section	.text._ZN9rocsparseL16kernel_calculateILi1024ELi32ELb0E21rocsparse_complex_numIdEiiEEvT4_T3_PKS4_S6_PKS3_PKT2_21rocsparse_index_base_S6_S6_S8_S6_S6_S8_S6_PS9_PNS_15floating_traitsIS9_E6data_tEPKSG_,"axG",@progbits,_ZN9rocsparseL16kernel_calculateILi1024ELi32ELb0E21rocsparse_complex_numIdEiiEEvT4_T3_PKS4_S6_PKS3_PKT2_21rocsparse_index_base_S6_S6_S8_S6_S6_S8_S6_PS9_PNS_15floating_traitsIS9_E6data_tEPKSG_,comdat
	.globl	_ZN9rocsparseL16kernel_calculateILi1024ELi32ELb0E21rocsparse_complex_numIdEiiEEvT4_T3_PKS4_S6_PKS3_PKT2_21rocsparse_index_base_S6_S6_S8_S6_S6_S8_S6_PS9_PNS_15floating_traitsIS9_E6data_tEPKSG_ ; -- Begin function _ZN9rocsparseL16kernel_calculateILi1024ELi32ELb0E21rocsparse_complex_numIdEiiEEvT4_T3_PKS4_S6_PKS3_PKT2_21rocsparse_index_base_S6_S6_S8_S6_S6_S8_S6_PS9_PNS_15floating_traitsIS9_E6data_tEPKSG_
	.p2align	8
	.type	_ZN9rocsparseL16kernel_calculateILi1024ELi32ELb0E21rocsparse_complex_numIdEiiEEvT4_T3_PKS4_S6_PKS3_PKT2_21rocsparse_index_base_S6_S6_S8_S6_S6_S8_S6_PS9_PNS_15floating_traitsIS9_E6data_tEPKSG_,@function
_ZN9rocsparseL16kernel_calculateILi1024ELi32ELb0E21rocsparse_complex_numIdEiiEEvT4_T3_PKS4_S6_PKS3_PKT2_21rocsparse_index_base_S6_S6_S8_S6_S6_S8_S6_PS9_PNS_15floating_traitsIS9_E6data_tEPKSG_: ; @_ZN9rocsparseL16kernel_calculateILi1024ELi32ELb0E21rocsparse_complex_numIdEiiEEvT4_T3_PKS4_S6_PKS3_PKT2_21rocsparse_index_base_S6_S6_S8_S6_S6_S8_S6_PS9_PNS_15floating_traitsIS9_E6data_tEPKSG_
; %bb.0:
	s_load_dword s33, s[0:1], 0x0
	v_lshrrev_b32_e32 v1, 5, v0
	v_lshl_or_b32 v22, s2, 10, v1
	s_waitcnt lgkmcnt(0)
	v_cmp_gt_i32_e32 vcc, s33, v22
	s_and_saveexec_b64 s[2:3], vcc
	s_cbranch_execz .LBB68_23
; %bb.1:
	s_load_dword s40, s[0:1], 0x28
	s_load_dwordx8 s[4:11], s[0:1], 0x50
	s_load_dwordx8 s[12:19], s[0:1], 0x30
	;; [unrolled: 1-line block ×3, first 2 shown]
	v_and_b32_e32 v0, 31, v0
	s_mov_b32 s28, 0
	s_waitcnt lgkmcnt(0)
	v_subrev_u32_e32 v23, s40, v0
	s_mov_b32 s41, 0
	s_brev_b32 s29, 8
	v_mov_b32_e32 v24, 0x260
	s_movk_i32 s42, 0x1f8
	v_mov_b32_e32 v25, 0x100
	v_mov_b32_e32 v26, 0xffffff80
	s_branch .LBB68_3
.LBB68_2:                               ;   in Loop: Header=BB68_3 Depth=1
	s_or_b64 exec, exec, s[30:31]
	s_add_i32 s41, s41, 1
	s_cmp_lg_u32 s41, 32
	s_cbranch_scc0 .LBB68_23
.LBB68_3:                               ; =>This Loop Header: Depth=1
                                        ;     Child Loop BB68_7 Depth 2
                                        ;       Child Loop BB68_10 Depth 3
	v_lshl_add_u32 v8, s41, 5, v22
	v_cmp_gt_i32_e32 vcc, s33, v8
	s_and_saveexec_b64 s[30:31], vcc
	s_cbranch_execz .LBB68_2
; %bb.4:                                ;   in Loop: Header=BB68_3 Depth=1
	v_ashrrev_i32_e32 v9, 31, v8
	v_lshlrev_b64 v[0:1], 2, v[8:9]
	v_lshl_add_u64 v[2:3], s[22:23], 0, v[0:1]
	global_load_dword v4, v[2:3], off
	v_lshl_add_u64 v[2:3], s[20:21], 0, v[0:1]
	global_load_dword v2, v[2:3], off
	s_waitcnt vmcnt(1)
	v_subrev_u32_e32 v9, s40, v4
	s_waitcnt vmcnt(0)
	v_add_u32_e32 v10, v23, v2
	v_cmp_lt_i32_e32 vcc, v10, v9
	s_and_b64 exec, exec, vcc
	s_cbranch_execz .LBB68_2
; %bb.5:                                ;   in Loop: Header=BB68_3 Depth=1
	v_lshl_add_u64 v[2:3], s[14:15], 0, v[0:1]
	v_lshl_add_u64 v[0:1], s[12:13], 0, v[0:1]
	global_load_dword v2, v[2:3], off
	s_mov_b64 s[34:35], 0
	global_load_dword v0, v[0:1], off
	s_waitcnt vmcnt(1)
	v_subrev_u32_e32 v27, s40, v2
	s_waitcnt vmcnt(0)
	v_cmp_lt_i32_e64 s[0:1], v0, v2
	v_subrev_u32_e32 v28, s40, v0
	s_branch .LBB68_7
.LBB68_6:                               ;   in Loop: Header=BB68_7 Depth=2
	s_or_b64 exec, exec, s[2:3]
	v_add_u32_e32 v10, 32, v10
	v_cmp_ge_i32_e32 vcc, v10, v9
	s_or_b64 s[34:35], vcc, s[34:35]
	s_andn2_b64 exec, exec, s[34:35]
	s_cbranch_execz .LBB68_2
.LBB68_7:                               ;   Parent Loop BB68_3 Depth=1
                                        ; =>  This Loop Header: Depth=2
                                        ;       Child Loop BB68_10 Depth 3
	v_ashrrev_i32_e32 v11, 31, v10
	v_lshl_add_u64 v[0:1], v[10:11], 2, s[24:25]
	global_load_dword v0, v[0:1], off
	v_mov_b64_e32 v[16:17], 0
	s_waitcnt vmcnt(0)
	v_subrev_u32_e32 v12, s40, v0
	v_ashrrev_i32_e32 v13, 31, v12
	v_lshlrev_b64 v[4:5], 2, v[12:13]
	v_lshl_add_u64 v[0:1], s[14:15], 0, v[4:5]
	global_load_dword v14, v[0:1], off
	v_lshl_add_u64 v[6:7], s[4:5], 0, v[4:5]
	v_lshl_add_u64 v[4:5], s[18:19], 0, v[4:5]
	global_load_dword v18, v[4:5], off
	global_load_dword v13, v[6:7], off
	v_lshl_add_u64 v[0:1], v[10:11], 4, s[26:27]
	global_load_dwordx4 v[0:3], v[0:1], off
	s_waitcnt vmcnt(3)
	v_subrev_u32_e32 v4, s40, v14
	v_ashrrev_i32_e32 v5, 31, v4
	v_lshl_add_u64 v[4:5], v[4:5], 4, s[10:11]
	global_load_dwordx4 v[4:7], v[4:5], off
	s_waitcnt vmcnt(2)
	v_cmp_lt_i32_e32 vcc, v18, v13
	s_and_b64 s[2:3], s[0:1], vcc
	v_mov_b64_e32 v[14:15], 0
	s_and_saveexec_b64 s[36:37], s[2:3]
	s_cbranch_execz .LBB68_13
; %bb.8:                                ;   in Loop: Header=BB68_7 Depth=2
	v_subrev_u32_e32 v13, s40, v13
	v_subrev_u32_e32 v18, s40, v18
	v_mov_b64_e32 v[14:15], 0
	s_mov_b64 s[38:39], 0
	v_mov_b32_e32 v20, v28
	v_mov_b64_e32 v[16:17], 0
	s_branch .LBB68_10
.LBB68_9:                               ;   in Loop: Header=BB68_10 Depth=3
	s_or_b64 exec, exec, s[2:3]
	v_cmp_le_i32_e32 vcc, v29, v30
	s_nop 1
	v_addc_co_u32_e32 v20, vcc, 0, v20, vcc
	v_cmp_ge_i32_e32 vcc, v29, v30
	s_nop 1
	v_addc_co_u32_e32 v18, vcc, 0, v18, vcc
	v_cmp_ge_i32_e32 vcc, v20, v27
	v_cmp_ge_i32_e64 s[2:3], v18, v13
	s_or_b64 s[2:3], vcc, s[2:3]
	s_and_b64 s[2:3], exec, s[2:3]
	s_or_b64 s[38:39], s[2:3], s[38:39]
	s_andn2_b64 exec, exec, s[38:39]
	s_cbranch_execz .LBB68_12
.LBB68_10:                              ;   Parent Loop BB68_3 Depth=1
                                        ;     Parent Loop BB68_7 Depth=2
                                        ; =>    This Inner Loop Header: Depth=3
	v_ashrrev_i32_e32 v21, 31, v20
	v_lshl_add_u64 v[30:31], v[20:21], 2, s[16:17]
	v_ashrrev_i32_e32 v19, 31, v18
	global_load_dword v29, v[30:31], off
	v_lshl_add_u64 v[30:31], v[18:19], 2, s[6:7]
	global_load_dword v30, v[30:31], off
	s_waitcnt vmcnt(0)
	v_cmp_eq_u32_e32 vcc, v29, v30
	s_and_saveexec_b64 s[2:3], vcc
	s_cbranch_execz .LBB68_9
; %bb.11:                               ;   in Loop: Header=BB68_10 Depth=3
	v_lshl_add_u64 v[32:33], v[18:19], 2, s[8:9]
	global_load_dword v36, v[32:33], off
	v_lshl_add_u64 v[32:33], v[20:21], 4, s[10:11]
	global_load_dwordx4 v[32:35], v[32:33], off
	s_waitcnt vmcnt(1)
	v_ashrrev_i32_e32 v37, 31, v36
	v_lshl_add_u64 v[36:37], v[36:37], 4, s[10:11]
	global_load_dwordx4 v[36:39], v[36:37], off
	s_waitcnt vmcnt(0)
	v_fmac_f64_e32 v[14:15], v[32:33], v[36:37]
	v_fmac_f64_e32 v[16:17], v[34:35], v[36:37]
	v_fma_f64 v[14:15], -v[34:35], v[38:39], v[14:15]
	v_fmac_f64_e32 v[16:17], v[32:33], v[38:39]
	s_branch .LBB68_9
.LBB68_12:                              ;   in Loop: Header=BB68_7 Depth=2
	s_or_b64 exec, exec, s[38:39]
.LBB68_13:                              ;   in Loop: Header=BB68_7 Depth=2
	s_or_b64 exec, exec, s[36:37]
	s_waitcnt vmcnt(1)
	v_add_f64 v[0:1], v[0:1], -v[14:15]
	v_add_f64 v[2:3], v[2:3], -v[16:17]
	v_cmp_gt_i32_e32 vcc, v8, v12
	s_and_saveexec_b64 s[2:3], vcc
	s_cbranch_execz .LBB68_15
; %bb.14:                               ;   in Loop: Header=BB68_7 Depth=2
	s_waitcnt vmcnt(0)
	v_mul_f64 v[12:13], v[6:7], v[6:7]
	v_fmac_f64_e32 v[12:13], v[4:5], v[4:5]
	v_div_scale_f64 v[14:15], s[36:37], v[12:13], v[12:13], 1.0
	v_rcp_f64_e32 v[16:17], v[14:15]
	v_div_scale_f64 v[18:19], vcc, 1.0, v[12:13], 1.0
	v_fma_f64 v[20:21], -v[14:15], v[16:17], 1.0
	v_fmac_f64_e32 v[16:17], v[16:17], v[20:21]
	v_fma_f64 v[20:21], -v[14:15], v[16:17], 1.0
	v_fmac_f64_e32 v[16:17], v[16:17], v[20:21]
	v_mul_f64 v[20:21], v[18:19], v[16:17]
	v_fma_f64 v[14:15], -v[14:15], v[20:21], v[18:19]
	v_div_fmas_f64 v[14:15], v[14:15], v[16:17], v[20:21]
	v_div_fixup_f64 v[12:13], v[14:15], v[12:13], 1.0
	v_mul_f64 v[14:15], v[6:7], v[2:3]
	v_fmac_f64_e32 v[14:15], v[0:1], v[4:5]
	v_mul_f64 v[0:1], v[6:7], -v[0:1]
	v_mul_f64 v[14:15], v[12:13], v[14:15]
	v_fmac_f64_e32 v[0:1], v[2:3], v[4:5]
	v_mul_f64 v[2:3], v[12:13], v[0:1]
	v_mov_b64_e32 v[0:1], v[14:15]
.LBB68_15:                              ;   in Loop: Header=BB68_7 Depth=2
	s_or_b64 exec, exec, s[2:3]
	s_waitcnt vmcnt(0)
	v_xor_b32_e32 v4, 0x80000000, v1
	v_cmp_gt_f64_e32 vcc, 0, v[0:1]
	v_xor_b32_e32 v6, 0x80000000, v3
                                        ; implicit-def: $vgpr12_vgpr13
	s_nop 0
	v_cndmask_b32_e32 v5, v1, v4, vcc
	v_cmp_gt_f64_e32 vcc, 0, v[2:3]
	v_mov_b32_e32 v4, v0
	s_nop 0
	v_cndmask_b32_e32 v7, v3, v6, vcc
	v_mov_b32_e32 v6, v2
	v_cmp_ngt_f64_e32 vcc, v[4:5], v[6:7]
	s_and_saveexec_b64 s[2:3], vcc
	s_xor_b64 s[2:3], exec, s[2:3]
	s_cbranch_execnz .LBB68_18
; %bb.16:                               ;   in Loop: Header=BB68_7 Depth=2
	s_andn2_saveexec_b64 s[2:3], s[2:3]
	s_cbranch_execnz .LBB68_21
.LBB68_17:                              ;   in Loop: Header=BB68_7 Depth=2
	s_or_b64 exec, exec, s[2:3]
	v_cmp_class_f64_e64 s[36:37], v[12:13], s42
	s_and_saveexec_b64 s[2:3], s[36:37]
	s_cbranch_execz .LBB68_6
	s_branch .LBB68_22
.LBB68_18:                              ;   in Loop: Header=BB68_7 Depth=2
	v_mov_b64_e32 v[12:13], 0
	v_cmp_neq_f64_e32 vcc, 0, v[2:3]
	s_and_saveexec_b64 s[36:37], vcc
	s_cbranch_execz .LBB68_20
; %bb.19:                               ;   in Loop: Header=BB68_7 Depth=2
	v_div_scale_f64 v[12:13], s[38:39], v[6:7], v[6:7], v[4:5]
	v_rcp_f64_e32 v[14:15], v[12:13]
	v_div_scale_f64 v[16:17], vcc, v[4:5], v[6:7], v[4:5]
	v_fma_f64 v[18:19], -v[12:13], v[14:15], 1.0
	v_fmac_f64_e32 v[14:15], v[14:15], v[18:19]
	v_fma_f64 v[18:19], -v[12:13], v[14:15], 1.0
	v_fmac_f64_e32 v[14:15], v[14:15], v[18:19]
	v_mul_f64 v[18:19], v[16:17], v[14:15]
	v_fma_f64 v[12:13], -v[12:13], v[18:19], v[16:17]
	v_div_fmas_f64 v[12:13], v[12:13], v[14:15], v[18:19]
	v_div_fixup_f64 v[4:5], v[12:13], v[6:7], v[4:5]
	v_fma_f64 v[4:5], v[4:5], v[4:5], 1.0
	v_cmp_gt_f64_e32 vcc, s[28:29], v[4:5]
	s_nop 1
	v_cndmask_b32_e32 v12, 0, v25, vcc
	v_ldexp_f64 v[4:5], v[4:5], v12
	v_rsq_f64_e32 v[12:13], v[4:5]
	s_nop 0
	v_mul_f64 v[14:15], v[4:5], v[12:13]
	v_mul_f64 v[12:13], v[12:13], 0.5
	v_fma_f64 v[16:17], -v[12:13], v[14:15], 0.5
	v_fmac_f64_e32 v[14:15], v[14:15], v[16:17]
	v_fma_f64 v[18:19], -v[14:15], v[14:15], v[4:5]
	v_fmac_f64_e32 v[12:13], v[12:13], v[16:17]
	v_fmac_f64_e32 v[14:15], v[18:19], v[12:13]
	v_fma_f64 v[16:17], -v[14:15], v[14:15], v[4:5]
	v_fmac_f64_e32 v[14:15], v[16:17], v[12:13]
	v_cndmask_b32_e32 v12, 0, v26, vcc
	v_ldexp_f64 v[12:13], v[14:15], v12
	v_cmp_class_f64_e32 vcc, v[4:5], v24
	s_nop 1
	v_cndmask_b32_e32 v5, v13, v5, vcc
	v_cndmask_b32_e32 v4, v12, v4, vcc
	v_mul_f64 v[12:13], v[6:7], v[4:5]
.LBB68_20:                              ;   in Loop: Header=BB68_7 Depth=2
	s_or_b64 exec, exec, s[36:37]
                                        ; implicit-def: $vgpr4_vgpr5
                                        ; implicit-def: $vgpr6_vgpr7
	s_andn2_saveexec_b64 s[2:3], s[2:3]
	s_cbranch_execz .LBB68_17
.LBB68_21:                              ;   in Loop: Header=BB68_7 Depth=2
	v_div_scale_f64 v[12:13], s[36:37], v[4:5], v[4:5], v[6:7]
	v_rcp_f64_e32 v[14:15], v[12:13]
	v_div_scale_f64 v[16:17], vcc, v[6:7], v[4:5], v[6:7]
	v_fma_f64 v[18:19], -v[12:13], v[14:15], 1.0
	v_fmac_f64_e32 v[14:15], v[14:15], v[18:19]
	v_fma_f64 v[18:19], -v[12:13], v[14:15], 1.0
	v_fmac_f64_e32 v[14:15], v[14:15], v[18:19]
	v_mul_f64 v[18:19], v[16:17], v[14:15]
	v_fma_f64 v[12:13], -v[12:13], v[18:19], v[16:17]
	v_div_fmas_f64 v[12:13], v[12:13], v[14:15], v[18:19]
	v_div_fixup_f64 v[6:7], v[12:13], v[4:5], v[6:7]
	v_fma_f64 v[6:7], v[6:7], v[6:7], 1.0
	v_cmp_gt_f64_e32 vcc, s[28:29], v[6:7]
	s_nop 1
	v_cndmask_b32_e32 v12, 0, v25, vcc
	v_ldexp_f64 v[6:7], v[6:7], v12
	v_rsq_f64_e32 v[12:13], v[6:7]
	s_nop 0
	v_mul_f64 v[14:15], v[6:7], v[12:13]
	v_mul_f64 v[12:13], v[12:13], 0.5
	v_fma_f64 v[16:17], -v[12:13], v[14:15], 0.5
	v_fmac_f64_e32 v[14:15], v[14:15], v[16:17]
	v_fma_f64 v[18:19], -v[14:15], v[14:15], v[6:7]
	v_fmac_f64_e32 v[12:13], v[12:13], v[16:17]
	v_fmac_f64_e32 v[14:15], v[18:19], v[12:13]
	v_fma_f64 v[16:17], -v[14:15], v[14:15], v[6:7]
	v_fmac_f64_e32 v[14:15], v[16:17], v[12:13]
	v_cndmask_b32_e32 v12, 0, v26, vcc
	v_ldexp_f64 v[12:13], v[14:15], v12
	v_cmp_class_f64_e32 vcc, v[6:7], v24
	s_nop 1
	v_cndmask_b32_e32 v7, v13, v7, vcc
	v_cndmask_b32_e32 v6, v12, v6, vcc
	v_mul_f64 v[12:13], v[4:5], v[6:7]
	s_or_b64 exec, exec, s[2:3]
	v_cmp_class_f64_e64 s[36:37], v[12:13], s42
	s_and_saveexec_b64 s[2:3], s[36:37]
	s_cbranch_execz .LBB68_6
.LBB68_22:                              ;   in Loop: Header=BB68_7 Depth=2
	v_lshl_add_u64 v[4:5], v[10:11], 4, s[10:11]
	global_store_dwordx4 v[4:5], v[0:3], off
	s_branch .LBB68_6
.LBB68_23:
	s_endpgm
	.section	.rodata,"a",@progbits
	.p2align	6, 0x0
	.amdhsa_kernel _ZN9rocsparseL16kernel_calculateILi1024ELi32ELb0E21rocsparse_complex_numIdEiiEEvT4_T3_PKS4_S6_PKS3_PKT2_21rocsparse_index_base_S6_S6_S8_S6_S6_S8_S6_PS9_PNS_15floating_traitsIS9_E6data_tEPKSG_
		.amdhsa_group_segment_fixed_size 0
		.amdhsa_private_segment_fixed_size 0
		.amdhsa_kernarg_size 128
		.amdhsa_user_sgpr_count 2
		.amdhsa_user_sgpr_dispatch_ptr 0
		.amdhsa_user_sgpr_queue_ptr 0
		.amdhsa_user_sgpr_kernarg_segment_ptr 1
		.amdhsa_user_sgpr_dispatch_id 0
		.amdhsa_user_sgpr_kernarg_preload_length 0
		.amdhsa_user_sgpr_kernarg_preload_offset 0
		.amdhsa_user_sgpr_private_segment_size 0
		.amdhsa_uses_dynamic_stack 0
		.amdhsa_enable_private_segment 0
		.amdhsa_system_sgpr_workgroup_id_x 1
		.amdhsa_system_sgpr_workgroup_id_y 0
		.amdhsa_system_sgpr_workgroup_id_z 0
		.amdhsa_system_sgpr_workgroup_info 0
		.amdhsa_system_vgpr_workitem_id 0
		.amdhsa_next_free_vgpr 40
		.amdhsa_next_free_sgpr 43
		.amdhsa_accum_offset 40
		.amdhsa_reserve_vcc 1
		.amdhsa_float_round_mode_32 0
		.amdhsa_float_round_mode_16_64 0
		.amdhsa_float_denorm_mode_32 3
		.amdhsa_float_denorm_mode_16_64 3
		.amdhsa_dx10_clamp 1
		.amdhsa_ieee_mode 1
		.amdhsa_fp16_overflow 0
		.amdhsa_tg_split 0
		.amdhsa_exception_fp_ieee_invalid_op 0
		.amdhsa_exception_fp_denorm_src 0
		.amdhsa_exception_fp_ieee_div_zero 0
		.amdhsa_exception_fp_ieee_overflow 0
		.amdhsa_exception_fp_ieee_underflow 0
		.amdhsa_exception_fp_ieee_inexact 0
		.amdhsa_exception_int_div_zero 0
	.end_amdhsa_kernel
	.section	.text._ZN9rocsparseL16kernel_calculateILi1024ELi32ELb0E21rocsparse_complex_numIdEiiEEvT4_T3_PKS4_S6_PKS3_PKT2_21rocsparse_index_base_S6_S6_S8_S6_S6_S8_S6_PS9_PNS_15floating_traitsIS9_E6data_tEPKSG_,"axG",@progbits,_ZN9rocsparseL16kernel_calculateILi1024ELi32ELb0E21rocsparse_complex_numIdEiiEEvT4_T3_PKS4_S6_PKS3_PKT2_21rocsparse_index_base_S6_S6_S8_S6_S6_S8_S6_PS9_PNS_15floating_traitsIS9_E6data_tEPKSG_,comdat
.Lfunc_end68:
	.size	_ZN9rocsparseL16kernel_calculateILi1024ELi32ELb0E21rocsparse_complex_numIdEiiEEvT4_T3_PKS4_S6_PKS3_PKT2_21rocsparse_index_base_S6_S6_S8_S6_S6_S8_S6_PS9_PNS_15floating_traitsIS9_E6data_tEPKSG_, .Lfunc_end68-_ZN9rocsparseL16kernel_calculateILi1024ELi32ELb0E21rocsparse_complex_numIdEiiEEvT4_T3_PKS4_S6_PKS3_PKT2_21rocsparse_index_base_S6_S6_S8_S6_S6_S8_S6_PS9_PNS_15floating_traitsIS9_E6data_tEPKSG_
                                        ; -- End function
	.set _ZN9rocsparseL16kernel_calculateILi1024ELi32ELb0E21rocsparse_complex_numIdEiiEEvT4_T3_PKS4_S6_PKS3_PKT2_21rocsparse_index_base_S6_S6_S8_S6_S6_S8_S6_PS9_PNS_15floating_traitsIS9_E6data_tEPKSG_.num_vgpr, 40
	.set _ZN9rocsparseL16kernel_calculateILi1024ELi32ELb0E21rocsparse_complex_numIdEiiEEvT4_T3_PKS4_S6_PKS3_PKT2_21rocsparse_index_base_S6_S6_S8_S6_S6_S8_S6_PS9_PNS_15floating_traitsIS9_E6data_tEPKSG_.num_agpr, 0
	.set _ZN9rocsparseL16kernel_calculateILi1024ELi32ELb0E21rocsparse_complex_numIdEiiEEvT4_T3_PKS4_S6_PKS3_PKT2_21rocsparse_index_base_S6_S6_S8_S6_S6_S8_S6_PS9_PNS_15floating_traitsIS9_E6data_tEPKSG_.numbered_sgpr, 43
	.set _ZN9rocsparseL16kernel_calculateILi1024ELi32ELb0E21rocsparse_complex_numIdEiiEEvT4_T3_PKS4_S6_PKS3_PKT2_21rocsparse_index_base_S6_S6_S8_S6_S6_S8_S6_PS9_PNS_15floating_traitsIS9_E6data_tEPKSG_.num_named_barrier, 0
	.set _ZN9rocsparseL16kernel_calculateILi1024ELi32ELb0E21rocsparse_complex_numIdEiiEEvT4_T3_PKS4_S6_PKS3_PKT2_21rocsparse_index_base_S6_S6_S8_S6_S6_S8_S6_PS9_PNS_15floating_traitsIS9_E6data_tEPKSG_.private_seg_size, 0
	.set _ZN9rocsparseL16kernel_calculateILi1024ELi32ELb0E21rocsparse_complex_numIdEiiEEvT4_T3_PKS4_S6_PKS3_PKT2_21rocsparse_index_base_S6_S6_S8_S6_S6_S8_S6_PS9_PNS_15floating_traitsIS9_E6data_tEPKSG_.uses_vcc, 1
	.set _ZN9rocsparseL16kernel_calculateILi1024ELi32ELb0E21rocsparse_complex_numIdEiiEEvT4_T3_PKS4_S6_PKS3_PKT2_21rocsparse_index_base_S6_S6_S8_S6_S6_S8_S6_PS9_PNS_15floating_traitsIS9_E6data_tEPKSG_.uses_flat_scratch, 0
	.set _ZN9rocsparseL16kernel_calculateILi1024ELi32ELb0E21rocsparse_complex_numIdEiiEEvT4_T3_PKS4_S6_PKS3_PKT2_21rocsparse_index_base_S6_S6_S8_S6_S6_S8_S6_PS9_PNS_15floating_traitsIS9_E6data_tEPKSG_.has_dyn_sized_stack, 0
	.set _ZN9rocsparseL16kernel_calculateILi1024ELi32ELb0E21rocsparse_complex_numIdEiiEEvT4_T3_PKS4_S6_PKS3_PKT2_21rocsparse_index_base_S6_S6_S8_S6_S6_S8_S6_PS9_PNS_15floating_traitsIS9_E6data_tEPKSG_.has_recursion, 0
	.set _ZN9rocsparseL16kernel_calculateILi1024ELi32ELb0E21rocsparse_complex_numIdEiiEEvT4_T3_PKS4_S6_PKS3_PKT2_21rocsparse_index_base_S6_S6_S8_S6_S6_S8_S6_PS9_PNS_15floating_traitsIS9_E6data_tEPKSG_.has_indirect_call, 0
	.section	.AMDGPU.csdata,"",@progbits
; Kernel info:
; codeLenInByte = 1468
; TotalNumSgprs: 49
; NumVgprs: 40
; NumAgprs: 0
; TotalNumVgprs: 40
; ScratchSize: 0
; MemoryBound: 1
; FloatMode: 240
; IeeeMode: 1
; LDSByteSize: 0 bytes/workgroup (compile time only)
; SGPRBlocks: 6
; VGPRBlocks: 4
; NumSGPRsForWavesPerEU: 49
; NumVGPRsForWavesPerEU: 40
; AccumOffset: 40
; Occupancy: 8
; WaveLimiterHint : 1
; COMPUTE_PGM_RSRC2:SCRATCH_EN: 0
; COMPUTE_PGM_RSRC2:USER_SGPR: 2
; COMPUTE_PGM_RSRC2:TRAP_HANDLER: 0
; COMPUTE_PGM_RSRC2:TGID_X_EN: 1
; COMPUTE_PGM_RSRC2:TGID_Y_EN: 0
; COMPUTE_PGM_RSRC2:TGID_Z_EN: 0
; COMPUTE_PGM_RSRC2:TIDIG_COMP_CNT: 0
; COMPUTE_PGM_RSRC3_GFX90A:ACCUM_OFFSET: 9
; COMPUTE_PGM_RSRC3_GFX90A:TG_SPLIT: 0
	.section	.text._ZN9rocsparseL16kernel_calculateILi1024ELi64ELb0E21rocsparse_complex_numIdEiiEEvT4_T3_PKS4_S6_PKS3_PKT2_21rocsparse_index_base_S6_S6_S8_S6_S6_S8_S6_PS9_PNS_15floating_traitsIS9_E6data_tEPKSG_,"axG",@progbits,_ZN9rocsparseL16kernel_calculateILi1024ELi64ELb0E21rocsparse_complex_numIdEiiEEvT4_T3_PKS4_S6_PKS3_PKT2_21rocsparse_index_base_S6_S6_S8_S6_S6_S8_S6_PS9_PNS_15floating_traitsIS9_E6data_tEPKSG_,comdat
	.globl	_ZN9rocsparseL16kernel_calculateILi1024ELi64ELb0E21rocsparse_complex_numIdEiiEEvT4_T3_PKS4_S6_PKS3_PKT2_21rocsparse_index_base_S6_S6_S8_S6_S6_S8_S6_PS9_PNS_15floating_traitsIS9_E6data_tEPKSG_ ; -- Begin function _ZN9rocsparseL16kernel_calculateILi1024ELi64ELb0E21rocsparse_complex_numIdEiiEEvT4_T3_PKS4_S6_PKS3_PKT2_21rocsparse_index_base_S6_S6_S8_S6_S6_S8_S6_PS9_PNS_15floating_traitsIS9_E6data_tEPKSG_
	.p2align	8
	.type	_ZN9rocsparseL16kernel_calculateILi1024ELi64ELb0E21rocsparse_complex_numIdEiiEEvT4_T3_PKS4_S6_PKS3_PKT2_21rocsparse_index_base_S6_S6_S8_S6_S6_S8_S6_PS9_PNS_15floating_traitsIS9_E6data_tEPKSG_,@function
_ZN9rocsparseL16kernel_calculateILi1024ELi64ELb0E21rocsparse_complex_numIdEiiEEvT4_T3_PKS4_S6_PKS3_PKT2_21rocsparse_index_base_S6_S6_S8_S6_S6_S8_S6_PS9_PNS_15floating_traitsIS9_E6data_tEPKSG_: ; @_ZN9rocsparseL16kernel_calculateILi1024ELi64ELb0E21rocsparse_complex_numIdEiiEEvT4_T3_PKS4_S6_PKS3_PKT2_21rocsparse_index_base_S6_S6_S8_S6_S6_S8_S6_PS9_PNS_15floating_traitsIS9_E6data_tEPKSG_
; %bb.0:
	s_load_dword s33, s[0:1], 0x0
	v_lshrrev_b32_e32 v1, 6, v0
	v_lshl_or_b32 v22, s2, 10, v1
	s_waitcnt lgkmcnt(0)
	v_cmp_gt_i32_e32 vcc, s33, v22
	s_and_saveexec_b64 s[2:3], vcc
	s_cbranch_execz .LBB69_23
; %bb.1:
	s_load_dword s40, s[0:1], 0x28
	s_load_dwordx8 s[4:11], s[0:1], 0x50
	s_load_dwordx8 s[12:19], s[0:1], 0x30
	;; [unrolled: 1-line block ×3, first 2 shown]
	v_and_b32_e32 v0, 63, v0
	s_mov_b32 s28, 0
	s_waitcnt lgkmcnt(0)
	v_subrev_u32_e32 v23, s40, v0
	s_mov_b32 s41, 0
	s_brev_b32 s29, 8
	v_mov_b32_e32 v24, 0x260
	s_movk_i32 s42, 0x1f8
	v_mov_b32_e32 v25, 0x100
	v_mov_b32_e32 v26, 0xffffff80
	s_branch .LBB69_3
.LBB69_2:                               ;   in Loop: Header=BB69_3 Depth=1
	s_or_b64 exec, exec, s[30:31]
	s_add_i32 s41, s41, 1
	s_cmp_lg_u32 s41, 64
	s_cbranch_scc0 .LBB69_23
.LBB69_3:                               ; =>This Loop Header: Depth=1
                                        ;     Child Loop BB69_7 Depth 2
                                        ;       Child Loop BB69_10 Depth 3
	v_lshl_add_u32 v8, s41, 4, v22
	v_cmp_gt_i32_e32 vcc, s33, v8
	s_and_saveexec_b64 s[30:31], vcc
	s_cbranch_execz .LBB69_2
; %bb.4:                                ;   in Loop: Header=BB69_3 Depth=1
	v_ashrrev_i32_e32 v9, 31, v8
	v_lshlrev_b64 v[0:1], 2, v[8:9]
	v_lshl_add_u64 v[2:3], s[22:23], 0, v[0:1]
	global_load_dword v4, v[2:3], off
	v_lshl_add_u64 v[2:3], s[20:21], 0, v[0:1]
	global_load_dword v2, v[2:3], off
	s_waitcnt vmcnt(1)
	v_subrev_u32_e32 v9, s40, v4
	s_waitcnt vmcnt(0)
	v_add_u32_e32 v10, v23, v2
	v_cmp_lt_i32_e32 vcc, v10, v9
	s_and_b64 exec, exec, vcc
	s_cbranch_execz .LBB69_2
; %bb.5:                                ;   in Loop: Header=BB69_3 Depth=1
	v_lshl_add_u64 v[2:3], s[14:15], 0, v[0:1]
	v_lshl_add_u64 v[0:1], s[12:13], 0, v[0:1]
	global_load_dword v2, v[2:3], off
	s_mov_b64 s[34:35], 0
	global_load_dword v0, v[0:1], off
	s_waitcnt vmcnt(1)
	v_subrev_u32_e32 v27, s40, v2
	s_waitcnt vmcnt(0)
	v_cmp_lt_i32_e64 s[0:1], v0, v2
	v_subrev_u32_e32 v28, s40, v0
	s_branch .LBB69_7
.LBB69_6:                               ;   in Loop: Header=BB69_7 Depth=2
	s_or_b64 exec, exec, s[2:3]
	v_add_u32_e32 v10, 64, v10
	v_cmp_ge_i32_e32 vcc, v10, v9
	s_or_b64 s[34:35], vcc, s[34:35]
	s_andn2_b64 exec, exec, s[34:35]
	s_cbranch_execz .LBB69_2
.LBB69_7:                               ;   Parent Loop BB69_3 Depth=1
                                        ; =>  This Loop Header: Depth=2
                                        ;       Child Loop BB69_10 Depth 3
	v_ashrrev_i32_e32 v11, 31, v10
	v_lshl_add_u64 v[0:1], v[10:11], 2, s[24:25]
	global_load_dword v0, v[0:1], off
	v_mov_b64_e32 v[16:17], 0
	s_waitcnt vmcnt(0)
	v_subrev_u32_e32 v12, s40, v0
	v_ashrrev_i32_e32 v13, 31, v12
	v_lshlrev_b64 v[4:5], 2, v[12:13]
	v_lshl_add_u64 v[0:1], s[14:15], 0, v[4:5]
	global_load_dword v14, v[0:1], off
	v_lshl_add_u64 v[6:7], s[4:5], 0, v[4:5]
	v_lshl_add_u64 v[4:5], s[18:19], 0, v[4:5]
	global_load_dword v18, v[4:5], off
	global_load_dword v13, v[6:7], off
	v_lshl_add_u64 v[0:1], v[10:11], 4, s[26:27]
	global_load_dwordx4 v[0:3], v[0:1], off
	s_waitcnt vmcnt(3)
	v_subrev_u32_e32 v4, s40, v14
	v_ashrrev_i32_e32 v5, 31, v4
	v_lshl_add_u64 v[4:5], v[4:5], 4, s[10:11]
	global_load_dwordx4 v[4:7], v[4:5], off
	s_waitcnt vmcnt(2)
	v_cmp_lt_i32_e32 vcc, v18, v13
	s_and_b64 s[2:3], s[0:1], vcc
	v_mov_b64_e32 v[14:15], 0
	s_and_saveexec_b64 s[36:37], s[2:3]
	s_cbranch_execz .LBB69_13
; %bb.8:                                ;   in Loop: Header=BB69_7 Depth=2
	v_subrev_u32_e32 v13, s40, v13
	v_subrev_u32_e32 v18, s40, v18
	v_mov_b64_e32 v[14:15], 0
	s_mov_b64 s[38:39], 0
	v_mov_b32_e32 v20, v28
	v_mov_b64_e32 v[16:17], 0
	s_branch .LBB69_10
.LBB69_9:                               ;   in Loop: Header=BB69_10 Depth=3
	s_or_b64 exec, exec, s[2:3]
	v_cmp_le_i32_e32 vcc, v29, v30
	s_nop 1
	v_addc_co_u32_e32 v20, vcc, 0, v20, vcc
	v_cmp_ge_i32_e32 vcc, v29, v30
	s_nop 1
	v_addc_co_u32_e32 v18, vcc, 0, v18, vcc
	v_cmp_ge_i32_e32 vcc, v20, v27
	v_cmp_ge_i32_e64 s[2:3], v18, v13
	s_or_b64 s[2:3], vcc, s[2:3]
	s_and_b64 s[2:3], exec, s[2:3]
	s_or_b64 s[38:39], s[2:3], s[38:39]
	s_andn2_b64 exec, exec, s[38:39]
	s_cbranch_execz .LBB69_12
.LBB69_10:                              ;   Parent Loop BB69_3 Depth=1
                                        ;     Parent Loop BB69_7 Depth=2
                                        ; =>    This Inner Loop Header: Depth=3
	v_ashrrev_i32_e32 v21, 31, v20
	v_lshl_add_u64 v[30:31], v[20:21], 2, s[16:17]
	v_ashrrev_i32_e32 v19, 31, v18
	global_load_dword v29, v[30:31], off
	v_lshl_add_u64 v[30:31], v[18:19], 2, s[6:7]
	global_load_dword v30, v[30:31], off
	s_waitcnt vmcnt(0)
	v_cmp_eq_u32_e32 vcc, v29, v30
	s_and_saveexec_b64 s[2:3], vcc
	s_cbranch_execz .LBB69_9
; %bb.11:                               ;   in Loop: Header=BB69_10 Depth=3
	v_lshl_add_u64 v[32:33], v[18:19], 2, s[8:9]
	global_load_dword v36, v[32:33], off
	v_lshl_add_u64 v[32:33], v[20:21], 4, s[10:11]
	global_load_dwordx4 v[32:35], v[32:33], off
	s_waitcnt vmcnt(1)
	v_ashrrev_i32_e32 v37, 31, v36
	v_lshl_add_u64 v[36:37], v[36:37], 4, s[10:11]
	global_load_dwordx4 v[36:39], v[36:37], off
	s_waitcnt vmcnt(0)
	v_fmac_f64_e32 v[14:15], v[32:33], v[36:37]
	v_fmac_f64_e32 v[16:17], v[34:35], v[36:37]
	v_fma_f64 v[14:15], -v[34:35], v[38:39], v[14:15]
	v_fmac_f64_e32 v[16:17], v[32:33], v[38:39]
	s_branch .LBB69_9
.LBB69_12:                              ;   in Loop: Header=BB69_7 Depth=2
	s_or_b64 exec, exec, s[38:39]
.LBB69_13:                              ;   in Loop: Header=BB69_7 Depth=2
	s_or_b64 exec, exec, s[36:37]
	s_waitcnt vmcnt(1)
	v_add_f64 v[0:1], v[0:1], -v[14:15]
	v_add_f64 v[2:3], v[2:3], -v[16:17]
	v_cmp_gt_i32_e32 vcc, v8, v12
	s_and_saveexec_b64 s[2:3], vcc
	s_cbranch_execz .LBB69_15
; %bb.14:                               ;   in Loop: Header=BB69_7 Depth=2
	s_waitcnt vmcnt(0)
	v_mul_f64 v[12:13], v[6:7], v[6:7]
	v_fmac_f64_e32 v[12:13], v[4:5], v[4:5]
	v_div_scale_f64 v[14:15], s[36:37], v[12:13], v[12:13], 1.0
	v_rcp_f64_e32 v[16:17], v[14:15]
	v_div_scale_f64 v[18:19], vcc, 1.0, v[12:13], 1.0
	v_fma_f64 v[20:21], -v[14:15], v[16:17], 1.0
	v_fmac_f64_e32 v[16:17], v[16:17], v[20:21]
	v_fma_f64 v[20:21], -v[14:15], v[16:17], 1.0
	v_fmac_f64_e32 v[16:17], v[16:17], v[20:21]
	v_mul_f64 v[20:21], v[18:19], v[16:17]
	v_fma_f64 v[14:15], -v[14:15], v[20:21], v[18:19]
	v_div_fmas_f64 v[14:15], v[14:15], v[16:17], v[20:21]
	v_div_fixup_f64 v[12:13], v[14:15], v[12:13], 1.0
	v_mul_f64 v[14:15], v[6:7], v[2:3]
	v_fmac_f64_e32 v[14:15], v[0:1], v[4:5]
	v_mul_f64 v[0:1], v[6:7], -v[0:1]
	v_mul_f64 v[14:15], v[12:13], v[14:15]
	v_fmac_f64_e32 v[0:1], v[2:3], v[4:5]
	v_mul_f64 v[2:3], v[12:13], v[0:1]
	v_mov_b64_e32 v[0:1], v[14:15]
.LBB69_15:                              ;   in Loop: Header=BB69_7 Depth=2
	s_or_b64 exec, exec, s[2:3]
	s_waitcnt vmcnt(0)
	v_xor_b32_e32 v4, 0x80000000, v1
	v_cmp_gt_f64_e32 vcc, 0, v[0:1]
	v_xor_b32_e32 v6, 0x80000000, v3
                                        ; implicit-def: $vgpr12_vgpr13
	s_nop 0
	v_cndmask_b32_e32 v5, v1, v4, vcc
	v_cmp_gt_f64_e32 vcc, 0, v[2:3]
	v_mov_b32_e32 v4, v0
	s_nop 0
	v_cndmask_b32_e32 v7, v3, v6, vcc
	v_mov_b32_e32 v6, v2
	v_cmp_ngt_f64_e32 vcc, v[4:5], v[6:7]
	s_and_saveexec_b64 s[2:3], vcc
	s_xor_b64 s[2:3], exec, s[2:3]
	s_cbranch_execnz .LBB69_18
; %bb.16:                               ;   in Loop: Header=BB69_7 Depth=2
	s_andn2_saveexec_b64 s[2:3], s[2:3]
	s_cbranch_execnz .LBB69_21
.LBB69_17:                              ;   in Loop: Header=BB69_7 Depth=2
	s_or_b64 exec, exec, s[2:3]
	v_cmp_class_f64_e64 s[36:37], v[12:13], s42
	s_and_saveexec_b64 s[2:3], s[36:37]
	s_cbranch_execz .LBB69_6
	s_branch .LBB69_22
.LBB69_18:                              ;   in Loop: Header=BB69_7 Depth=2
	v_mov_b64_e32 v[12:13], 0
	v_cmp_neq_f64_e32 vcc, 0, v[2:3]
	s_and_saveexec_b64 s[36:37], vcc
	s_cbranch_execz .LBB69_20
; %bb.19:                               ;   in Loop: Header=BB69_7 Depth=2
	v_div_scale_f64 v[12:13], s[38:39], v[6:7], v[6:7], v[4:5]
	v_rcp_f64_e32 v[14:15], v[12:13]
	v_div_scale_f64 v[16:17], vcc, v[4:5], v[6:7], v[4:5]
	v_fma_f64 v[18:19], -v[12:13], v[14:15], 1.0
	v_fmac_f64_e32 v[14:15], v[14:15], v[18:19]
	v_fma_f64 v[18:19], -v[12:13], v[14:15], 1.0
	v_fmac_f64_e32 v[14:15], v[14:15], v[18:19]
	v_mul_f64 v[18:19], v[16:17], v[14:15]
	v_fma_f64 v[12:13], -v[12:13], v[18:19], v[16:17]
	v_div_fmas_f64 v[12:13], v[12:13], v[14:15], v[18:19]
	v_div_fixup_f64 v[4:5], v[12:13], v[6:7], v[4:5]
	v_fma_f64 v[4:5], v[4:5], v[4:5], 1.0
	v_cmp_gt_f64_e32 vcc, s[28:29], v[4:5]
	s_nop 1
	v_cndmask_b32_e32 v12, 0, v25, vcc
	v_ldexp_f64 v[4:5], v[4:5], v12
	v_rsq_f64_e32 v[12:13], v[4:5]
	s_nop 0
	v_mul_f64 v[14:15], v[4:5], v[12:13]
	v_mul_f64 v[12:13], v[12:13], 0.5
	v_fma_f64 v[16:17], -v[12:13], v[14:15], 0.5
	v_fmac_f64_e32 v[14:15], v[14:15], v[16:17]
	v_fma_f64 v[18:19], -v[14:15], v[14:15], v[4:5]
	v_fmac_f64_e32 v[12:13], v[12:13], v[16:17]
	v_fmac_f64_e32 v[14:15], v[18:19], v[12:13]
	v_fma_f64 v[16:17], -v[14:15], v[14:15], v[4:5]
	v_fmac_f64_e32 v[14:15], v[16:17], v[12:13]
	v_cndmask_b32_e32 v12, 0, v26, vcc
	v_ldexp_f64 v[12:13], v[14:15], v12
	v_cmp_class_f64_e32 vcc, v[4:5], v24
	s_nop 1
	v_cndmask_b32_e32 v5, v13, v5, vcc
	v_cndmask_b32_e32 v4, v12, v4, vcc
	v_mul_f64 v[12:13], v[6:7], v[4:5]
.LBB69_20:                              ;   in Loop: Header=BB69_7 Depth=2
	s_or_b64 exec, exec, s[36:37]
                                        ; implicit-def: $vgpr4_vgpr5
                                        ; implicit-def: $vgpr6_vgpr7
	s_andn2_saveexec_b64 s[2:3], s[2:3]
	s_cbranch_execz .LBB69_17
.LBB69_21:                              ;   in Loop: Header=BB69_7 Depth=2
	v_div_scale_f64 v[12:13], s[36:37], v[4:5], v[4:5], v[6:7]
	v_rcp_f64_e32 v[14:15], v[12:13]
	v_div_scale_f64 v[16:17], vcc, v[6:7], v[4:5], v[6:7]
	v_fma_f64 v[18:19], -v[12:13], v[14:15], 1.0
	v_fmac_f64_e32 v[14:15], v[14:15], v[18:19]
	v_fma_f64 v[18:19], -v[12:13], v[14:15], 1.0
	v_fmac_f64_e32 v[14:15], v[14:15], v[18:19]
	v_mul_f64 v[18:19], v[16:17], v[14:15]
	v_fma_f64 v[12:13], -v[12:13], v[18:19], v[16:17]
	v_div_fmas_f64 v[12:13], v[12:13], v[14:15], v[18:19]
	v_div_fixup_f64 v[6:7], v[12:13], v[4:5], v[6:7]
	v_fma_f64 v[6:7], v[6:7], v[6:7], 1.0
	v_cmp_gt_f64_e32 vcc, s[28:29], v[6:7]
	s_nop 1
	v_cndmask_b32_e32 v12, 0, v25, vcc
	v_ldexp_f64 v[6:7], v[6:7], v12
	v_rsq_f64_e32 v[12:13], v[6:7]
	s_nop 0
	v_mul_f64 v[14:15], v[6:7], v[12:13]
	v_mul_f64 v[12:13], v[12:13], 0.5
	v_fma_f64 v[16:17], -v[12:13], v[14:15], 0.5
	v_fmac_f64_e32 v[14:15], v[14:15], v[16:17]
	v_fma_f64 v[18:19], -v[14:15], v[14:15], v[6:7]
	v_fmac_f64_e32 v[12:13], v[12:13], v[16:17]
	v_fmac_f64_e32 v[14:15], v[18:19], v[12:13]
	v_fma_f64 v[16:17], -v[14:15], v[14:15], v[6:7]
	v_fmac_f64_e32 v[14:15], v[16:17], v[12:13]
	v_cndmask_b32_e32 v12, 0, v26, vcc
	v_ldexp_f64 v[12:13], v[14:15], v12
	v_cmp_class_f64_e32 vcc, v[6:7], v24
	s_nop 1
	v_cndmask_b32_e32 v7, v13, v7, vcc
	v_cndmask_b32_e32 v6, v12, v6, vcc
	v_mul_f64 v[12:13], v[4:5], v[6:7]
	s_or_b64 exec, exec, s[2:3]
	v_cmp_class_f64_e64 s[36:37], v[12:13], s42
	s_and_saveexec_b64 s[2:3], s[36:37]
	s_cbranch_execz .LBB69_6
.LBB69_22:                              ;   in Loop: Header=BB69_7 Depth=2
	v_lshl_add_u64 v[4:5], v[10:11], 4, s[10:11]
	global_store_dwordx4 v[4:5], v[0:3], off
	s_branch .LBB69_6
.LBB69_23:
	s_endpgm
	.section	.rodata,"a",@progbits
	.p2align	6, 0x0
	.amdhsa_kernel _ZN9rocsparseL16kernel_calculateILi1024ELi64ELb0E21rocsparse_complex_numIdEiiEEvT4_T3_PKS4_S6_PKS3_PKT2_21rocsparse_index_base_S6_S6_S8_S6_S6_S8_S6_PS9_PNS_15floating_traitsIS9_E6data_tEPKSG_
		.amdhsa_group_segment_fixed_size 0
		.amdhsa_private_segment_fixed_size 0
		.amdhsa_kernarg_size 128
		.amdhsa_user_sgpr_count 2
		.amdhsa_user_sgpr_dispatch_ptr 0
		.amdhsa_user_sgpr_queue_ptr 0
		.amdhsa_user_sgpr_kernarg_segment_ptr 1
		.amdhsa_user_sgpr_dispatch_id 0
		.amdhsa_user_sgpr_kernarg_preload_length 0
		.amdhsa_user_sgpr_kernarg_preload_offset 0
		.amdhsa_user_sgpr_private_segment_size 0
		.amdhsa_uses_dynamic_stack 0
		.amdhsa_enable_private_segment 0
		.amdhsa_system_sgpr_workgroup_id_x 1
		.amdhsa_system_sgpr_workgroup_id_y 0
		.amdhsa_system_sgpr_workgroup_id_z 0
		.amdhsa_system_sgpr_workgroup_info 0
		.amdhsa_system_vgpr_workitem_id 0
		.amdhsa_next_free_vgpr 40
		.amdhsa_next_free_sgpr 43
		.amdhsa_accum_offset 40
		.amdhsa_reserve_vcc 1
		.amdhsa_float_round_mode_32 0
		.amdhsa_float_round_mode_16_64 0
		.amdhsa_float_denorm_mode_32 3
		.amdhsa_float_denorm_mode_16_64 3
		.amdhsa_dx10_clamp 1
		.amdhsa_ieee_mode 1
		.amdhsa_fp16_overflow 0
		.amdhsa_tg_split 0
		.amdhsa_exception_fp_ieee_invalid_op 0
		.amdhsa_exception_fp_denorm_src 0
		.amdhsa_exception_fp_ieee_div_zero 0
		.amdhsa_exception_fp_ieee_overflow 0
		.amdhsa_exception_fp_ieee_underflow 0
		.amdhsa_exception_fp_ieee_inexact 0
		.amdhsa_exception_int_div_zero 0
	.end_amdhsa_kernel
	.section	.text._ZN9rocsparseL16kernel_calculateILi1024ELi64ELb0E21rocsparse_complex_numIdEiiEEvT4_T3_PKS4_S6_PKS3_PKT2_21rocsparse_index_base_S6_S6_S8_S6_S6_S8_S6_PS9_PNS_15floating_traitsIS9_E6data_tEPKSG_,"axG",@progbits,_ZN9rocsparseL16kernel_calculateILi1024ELi64ELb0E21rocsparse_complex_numIdEiiEEvT4_T3_PKS4_S6_PKS3_PKT2_21rocsparse_index_base_S6_S6_S8_S6_S6_S8_S6_PS9_PNS_15floating_traitsIS9_E6data_tEPKSG_,comdat
.Lfunc_end69:
	.size	_ZN9rocsparseL16kernel_calculateILi1024ELi64ELb0E21rocsparse_complex_numIdEiiEEvT4_T3_PKS4_S6_PKS3_PKT2_21rocsparse_index_base_S6_S6_S8_S6_S6_S8_S6_PS9_PNS_15floating_traitsIS9_E6data_tEPKSG_, .Lfunc_end69-_ZN9rocsparseL16kernel_calculateILi1024ELi64ELb0E21rocsparse_complex_numIdEiiEEvT4_T3_PKS4_S6_PKS3_PKT2_21rocsparse_index_base_S6_S6_S8_S6_S6_S8_S6_PS9_PNS_15floating_traitsIS9_E6data_tEPKSG_
                                        ; -- End function
	.set _ZN9rocsparseL16kernel_calculateILi1024ELi64ELb0E21rocsparse_complex_numIdEiiEEvT4_T3_PKS4_S6_PKS3_PKT2_21rocsparse_index_base_S6_S6_S8_S6_S6_S8_S6_PS9_PNS_15floating_traitsIS9_E6data_tEPKSG_.num_vgpr, 40
	.set _ZN9rocsparseL16kernel_calculateILi1024ELi64ELb0E21rocsparse_complex_numIdEiiEEvT4_T3_PKS4_S6_PKS3_PKT2_21rocsparse_index_base_S6_S6_S8_S6_S6_S8_S6_PS9_PNS_15floating_traitsIS9_E6data_tEPKSG_.num_agpr, 0
	.set _ZN9rocsparseL16kernel_calculateILi1024ELi64ELb0E21rocsparse_complex_numIdEiiEEvT4_T3_PKS4_S6_PKS3_PKT2_21rocsparse_index_base_S6_S6_S8_S6_S6_S8_S6_PS9_PNS_15floating_traitsIS9_E6data_tEPKSG_.numbered_sgpr, 43
	.set _ZN9rocsparseL16kernel_calculateILi1024ELi64ELb0E21rocsparse_complex_numIdEiiEEvT4_T3_PKS4_S6_PKS3_PKT2_21rocsparse_index_base_S6_S6_S8_S6_S6_S8_S6_PS9_PNS_15floating_traitsIS9_E6data_tEPKSG_.num_named_barrier, 0
	.set _ZN9rocsparseL16kernel_calculateILi1024ELi64ELb0E21rocsparse_complex_numIdEiiEEvT4_T3_PKS4_S6_PKS3_PKT2_21rocsparse_index_base_S6_S6_S8_S6_S6_S8_S6_PS9_PNS_15floating_traitsIS9_E6data_tEPKSG_.private_seg_size, 0
	.set _ZN9rocsparseL16kernel_calculateILi1024ELi64ELb0E21rocsparse_complex_numIdEiiEEvT4_T3_PKS4_S6_PKS3_PKT2_21rocsparse_index_base_S6_S6_S8_S6_S6_S8_S6_PS9_PNS_15floating_traitsIS9_E6data_tEPKSG_.uses_vcc, 1
	.set _ZN9rocsparseL16kernel_calculateILi1024ELi64ELb0E21rocsparse_complex_numIdEiiEEvT4_T3_PKS4_S6_PKS3_PKT2_21rocsparse_index_base_S6_S6_S8_S6_S6_S8_S6_PS9_PNS_15floating_traitsIS9_E6data_tEPKSG_.uses_flat_scratch, 0
	.set _ZN9rocsparseL16kernel_calculateILi1024ELi64ELb0E21rocsparse_complex_numIdEiiEEvT4_T3_PKS4_S6_PKS3_PKT2_21rocsparse_index_base_S6_S6_S8_S6_S6_S8_S6_PS9_PNS_15floating_traitsIS9_E6data_tEPKSG_.has_dyn_sized_stack, 0
	.set _ZN9rocsparseL16kernel_calculateILi1024ELi64ELb0E21rocsparse_complex_numIdEiiEEvT4_T3_PKS4_S6_PKS3_PKT2_21rocsparse_index_base_S6_S6_S8_S6_S6_S8_S6_PS9_PNS_15floating_traitsIS9_E6data_tEPKSG_.has_recursion, 0
	.set _ZN9rocsparseL16kernel_calculateILi1024ELi64ELb0E21rocsparse_complex_numIdEiiEEvT4_T3_PKS4_S6_PKS3_PKT2_21rocsparse_index_base_S6_S6_S8_S6_S6_S8_S6_PS9_PNS_15floating_traitsIS9_E6data_tEPKSG_.has_indirect_call, 0
	.section	.AMDGPU.csdata,"",@progbits
; Kernel info:
; codeLenInByte = 1468
; TotalNumSgprs: 49
; NumVgprs: 40
; NumAgprs: 0
; TotalNumVgprs: 40
; ScratchSize: 0
; MemoryBound: 1
; FloatMode: 240
; IeeeMode: 1
; LDSByteSize: 0 bytes/workgroup (compile time only)
; SGPRBlocks: 6
; VGPRBlocks: 4
; NumSGPRsForWavesPerEU: 49
; NumVGPRsForWavesPerEU: 40
; AccumOffset: 40
; Occupancy: 8
; WaveLimiterHint : 1
; COMPUTE_PGM_RSRC2:SCRATCH_EN: 0
; COMPUTE_PGM_RSRC2:USER_SGPR: 2
; COMPUTE_PGM_RSRC2:TRAP_HANDLER: 0
; COMPUTE_PGM_RSRC2:TGID_X_EN: 1
; COMPUTE_PGM_RSRC2:TGID_Y_EN: 0
; COMPUTE_PGM_RSRC2:TGID_Z_EN: 0
; COMPUTE_PGM_RSRC2:TIDIG_COMP_CNT: 0
; COMPUTE_PGM_RSRC3_GFX90A:ACCUM_OFFSET: 9
; COMPUTE_PGM_RSRC3_GFX90A:TG_SPLIT: 0
	.section	.text._ZN9rocsparseL20kernel_calculate_cooILi1024ELi32ELb0E21rocsparse_complex_numIdEiiEEvT4_T3_PKS3_S6_PKT2_21rocsparse_index_base_PKS4_SC_S6_SC_SC_S6_SC_PS7_PNS_15floating_traitsIS7_E6data_tEPKSG_,"axG",@progbits,_ZN9rocsparseL20kernel_calculate_cooILi1024ELi32ELb0E21rocsparse_complex_numIdEiiEEvT4_T3_PKS3_S6_PKT2_21rocsparse_index_base_PKS4_SC_S6_SC_SC_S6_SC_PS7_PNS_15floating_traitsIS7_E6data_tEPKSG_,comdat
	.globl	_ZN9rocsparseL20kernel_calculate_cooILi1024ELi32ELb0E21rocsparse_complex_numIdEiiEEvT4_T3_PKS3_S6_PKT2_21rocsparse_index_base_PKS4_SC_S6_SC_SC_S6_SC_PS7_PNS_15floating_traitsIS7_E6data_tEPKSG_ ; -- Begin function _ZN9rocsparseL20kernel_calculate_cooILi1024ELi32ELb0E21rocsparse_complex_numIdEiiEEvT4_T3_PKS3_S6_PKT2_21rocsparse_index_base_PKS4_SC_S6_SC_SC_S6_SC_PS7_PNS_15floating_traitsIS7_E6data_tEPKSG_
	.p2align	8
	.type	_ZN9rocsparseL20kernel_calculate_cooILi1024ELi32ELb0E21rocsparse_complex_numIdEiiEEvT4_T3_PKS3_S6_PKT2_21rocsparse_index_base_PKS4_SC_S6_SC_SC_S6_SC_PS7_PNS_15floating_traitsIS7_E6data_tEPKSG_,@function
_ZN9rocsparseL20kernel_calculate_cooILi1024ELi32ELb0E21rocsparse_complex_numIdEiiEEvT4_T3_PKS3_S6_PKT2_21rocsparse_index_base_PKS4_SC_S6_SC_SC_S6_SC_PS7_PNS_15floating_traitsIS7_E6data_tEPKSG_: ; @_ZN9rocsparseL20kernel_calculate_cooILi1024ELi32ELb0E21rocsparse_complex_numIdEiiEEvT4_T3_PKS3_S6_PKT2_21rocsparse_index_base_PKS4_SC_S6_SC_SC_S6_SC_PS7_PNS_15floating_traitsIS7_E6data_tEPKSG_
; %bb.0:
	s_load_dword s33, s[0:1], 0x4
	v_lshl_or_b32 v8, s2, 16, v0
	s_waitcnt lgkmcnt(0)
	v_cmp_gt_i32_e32 vcc, s33, v8
	s_and_saveexec_b64 s[2:3], vcc
	s_cbranch_execz .LBB70_20
; %bb.1:
	s_load_dwordx8 s[4:11], s[0:1], 0x48
	s_load_dwordx4 s[20:23], s[0:1], 0x8
	s_load_dwordx2 s[2:3], s[0:1], 0x18
	s_load_dwordx8 s[12:19], s[0:1], 0x28
	s_load_dword s34, s[0:1], 0x20
	s_mov_b32 s24, 0
	s_mov_b32 s35, 0
	s_brev_b32 s25, 8
	v_mov_b32_e32 v18, 0x260
	s_movk_i32 s36, 0x1f8
	v_mov_b32_e32 v19, 0x100
	v_mov_b32_e32 v20, 0xffffff80
	s_branch .LBB70_3
.LBB70_2:                               ;   in Loop: Header=BB70_3 Depth=1
	s_or_b64 exec, exec, s[26:27]
	s_add_i32 s35, s35, 1
	s_cmp_lg_u32 s35, 64
	v_add_u32_e32 v8, 0x400, v8
	s_cbranch_scc0 .LBB70_20
.LBB70_3:                               ; =>This Loop Header: Depth=1
                                        ;     Child Loop BB70_7 Depth 2
	v_cmp_gt_i32_e32 vcc, s33, v8
	s_and_saveexec_b64 s[26:27], vcc
	s_cbranch_execz .LBB70_2
; %bb.4:                                ;   in Loop: Header=BB70_3 Depth=1
	v_ashrrev_i32_e32 v9, 31, v8
	v_lshlrev_b64 v[0:1], 2, v[8:9]
	s_waitcnt lgkmcnt(0)
	v_lshl_add_u64 v[2:3], s[22:23], 0, v[0:1]
	global_load_dword v21, v[2:3], off
	v_lshl_add_u64 v[0:1], s[20:21], 0, v[0:1]
	global_load_dword v22, v[0:1], off
	s_waitcnt vmcnt(1)
	v_subrev_u32_e32 v0, s34, v21
	v_ashrrev_i32_e32 v1, 31, v0
	v_lshlrev_b64 v[4:5], 2, v[0:1]
	v_lshl_add_u64 v[0:1], s[14:15], 0, v[4:5]
	global_load_dword v12, v[0:1], off
	s_waitcnt vmcnt(1)
	v_subrev_u32_e32 v0, s34, v22
	v_ashrrev_i32_e32 v1, 31, v0
	v_lshlrev_b64 v[6:7], 2, v[0:1]
	v_lshl_add_u64 v[10:11], s[4:5], 0, v[4:5]
	v_lshl_add_u64 v[4:5], s[18:19], 0, v[4:5]
	;; [unrolled: 1-line block ×4, first 2 shown]
	global_load_dword v17, v[4:5], off
	global_load_dword v14, v[0:1], off
	;; [unrolled: 1-line block ×4, first 2 shown]
	v_lshl_add_u64 v[0:1], v[8:9], 4, s[2:3]
	global_load_dwordx4 v[0:3], v[0:1], off
	v_mov_b64_e32 v[10:11], 0
	s_waitcnt vmcnt(5)
	v_subrev_u32_e32 v4, s34, v12
	v_ashrrev_i32_e32 v5, 31, v4
	v_lshl_add_u64 v[4:5], v[4:5], 4, s[10:11]
	global_load_dwordx4 v[4:7], v[4:5], off
	v_mov_b64_e32 v[12:13], 0
	s_waitcnt vmcnt(3)
	v_cmp_lt_i32_e64 s[0:1], v17, v15
	s_waitcnt vmcnt(2)
	v_cmp_lt_i32_e32 vcc, v16, v14
	s_and_b64 s[0:1], vcc, s[0:1]
	s_and_saveexec_b64 s[28:29], s[0:1]
	s_cbranch_execz .LBB70_10
; %bb.5:                                ;   in Loop: Header=BB70_3 Depth=1
	v_subrev_u32_e32 v23, s34, v15
	v_subrev_u32_e32 v24, s34, v14
	;; [unrolled: 1-line block ×4, first 2 shown]
	v_mov_b64_e32 v[10:11], 0
	s_mov_b64 s[30:31], 0
	v_mov_b64_e32 v[12:13], 0
	s_branch .LBB70_7
.LBB70_6:                               ;   in Loop: Header=BB70_7 Depth=2
	s_or_b64 exec, exec, s[0:1]
	v_cmp_le_i32_e32 vcc, v25, v26
	s_nop 1
	v_addc_co_u32_e32 v16, vcc, 0, v16, vcc
	v_cmp_ge_i32_e32 vcc, v25, v26
	s_nop 1
	v_addc_co_u32_e32 v14, vcc, 0, v14, vcc
	v_cmp_ge_i32_e32 vcc, v16, v24
	v_cmp_ge_i32_e64 s[0:1], v14, v23
	s_or_b64 s[0:1], vcc, s[0:1]
	s_and_b64 s[0:1], exec, s[0:1]
	s_or_b64 s[30:31], s[0:1], s[30:31]
	s_andn2_b64 exec, exec, s[30:31]
	s_cbranch_execz .LBB70_9
.LBB70_7:                               ;   Parent Loop BB70_3 Depth=1
                                        ; =>  This Inner Loop Header: Depth=2
	v_ashrrev_i32_e32 v17, 31, v16
	v_lshl_add_u64 v[26:27], v[16:17], 2, s[16:17]
	v_ashrrev_i32_e32 v15, 31, v14
	global_load_dword v25, v[26:27], off
	v_lshl_add_u64 v[26:27], v[14:15], 2, s[6:7]
	global_load_dword v26, v[26:27], off
	s_waitcnt vmcnt(0)
	v_cmp_eq_u32_e32 vcc, v25, v26
	s_and_saveexec_b64 s[0:1], vcc
	s_cbranch_execz .LBB70_6
; %bb.8:                                ;   in Loop: Header=BB70_7 Depth=2
	v_lshl_add_u64 v[28:29], v[14:15], 2, s[8:9]
	global_load_dword v32, v[28:29], off
	v_lshl_add_u64 v[28:29], v[16:17], 4, s[10:11]
	global_load_dwordx4 v[28:31], v[28:29], off
	s_waitcnt vmcnt(1)
	v_ashrrev_i32_e32 v33, 31, v32
	v_lshl_add_u64 v[32:33], v[32:33], 4, s[10:11]
	global_load_dwordx4 v[32:35], v[32:33], off
	s_waitcnt vmcnt(0)
	v_fmac_f64_e32 v[10:11], v[28:29], v[32:33]
	v_fmac_f64_e32 v[12:13], v[30:31], v[32:33]
	v_fma_f64 v[10:11], -v[30:31], v[34:35], v[10:11]
	v_fmac_f64_e32 v[12:13], v[28:29], v[34:35]
	s_branch .LBB70_6
.LBB70_9:                               ;   in Loop: Header=BB70_3 Depth=1
	s_or_b64 exec, exec, s[30:31]
.LBB70_10:                              ;   in Loop: Header=BB70_3 Depth=1
	s_or_b64 exec, exec, s[28:29]
	s_waitcnt vmcnt(1)
	v_add_f64 v[0:1], v[0:1], -v[10:11]
	v_add_f64 v[2:3], v[2:3], -v[12:13]
	v_cmp_gt_i32_e32 vcc, v22, v21
	s_and_saveexec_b64 s[0:1], vcc
	s_cbranch_execz .LBB70_12
; %bb.11:                               ;   in Loop: Header=BB70_3 Depth=1
	s_waitcnt vmcnt(0)
	v_mul_f64 v[10:11], v[6:7], v[6:7]
	v_fmac_f64_e32 v[10:11], v[4:5], v[4:5]
	v_div_scale_f64 v[12:13], s[28:29], v[10:11], v[10:11], 1.0
	v_rcp_f64_e32 v[14:15], v[12:13]
	v_div_scale_f64 v[16:17], vcc, 1.0, v[10:11], 1.0
	v_fma_f64 v[22:23], -v[12:13], v[14:15], 1.0
	v_fmac_f64_e32 v[14:15], v[14:15], v[22:23]
	v_fma_f64 v[22:23], -v[12:13], v[14:15], 1.0
	v_fmac_f64_e32 v[14:15], v[14:15], v[22:23]
	v_mul_f64 v[22:23], v[16:17], v[14:15]
	v_fma_f64 v[12:13], -v[12:13], v[22:23], v[16:17]
	v_div_fmas_f64 v[12:13], v[12:13], v[14:15], v[22:23]
	v_div_fixup_f64 v[10:11], v[12:13], v[10:11], 1.0
	v_mul_f64 v[12:13], v[6:7], v[2:3]
	v_fmac_f64_e32 v[12:13], v[0:1], v[4:5]
	v_mul_f64 v[0:1], v[6:7], -v[0:1]
	v_mul_f64 v[12:13], v[10:11], v[12:13]
	v_fmac_f64_e32 v[0:1], v[2:3], v[4:5]
	v_mul_f64 v[2:3], v[10:11], v[0:1]
	v_mov_b64_e32 v[0:1], v[12:13]
.LBB70_12:                              ;   in Loop: Header=BB70_3 Depth=1
	s_or_b64 exec, exec, s[0:1]
	s_waitcnt vmcnt(0)
	v_xor_b32_e32 v4, 0x80000000, v1
	v_cmp_gt_f64_e32 vcc, 0, v[0:1]
	v_xor_b32_e32 v6, 0x80000000, v3
                                        ; implicit-def: $vgpr10_vgpr11
	s_nop 0
	v_cndmask_b32_e32 v5, v1, v4, vcc
	v_cmp_gt_f64_e32 vcc, 0, v[2:3]
	v_mov_b32_e32 v4, v0
	s_nop 0
	v_cndmask_b32_e32 v7, v3, v6, vcc
	v_mov_b32_e32 v6, v2
	v_cmp_ngt_f64_e32 vcc, v[4:5], v[6:7]
	s_and_saveexec_b64 s[0:1], vcc
	s_xor_b64 s[0:1], exec, s[0:1]
	s_cbranch_execnz .LBB70_15
; %bb.13:                               ;   in Loop: Header=BB70_3 Depth=1
	s_andn2_saveexec_b64 s[0:1], s[0:1]
	s_cbranch_execnz .LBB70_18
.LBB70_14:                              ;   in Loop: Header=BB70_3 Depth=1
	s_or_b64 exec, exec, s[0:1]
	v_cmp_class_f64_e64 s[0:1], v[10:11], s36
	s_and_b64 exec, exec, s[0:1]
	s_cbranch_execz .LBB70_2
	s_branch .LBB70_19
.LBB70_15:                              ;   in Loop: Header=BB70_3 Depth=1
	v_mov_b64_e32 v[10:11], 0
	v_cmp_neq_f64_e32 vcc, 0, v[2:3]
	s_and_saveexec_b64 s[28:29], vcc
	s_cbranch_execz .LBB70_17
; %bb.16:                               ;   in Loop: Header=BB70_3 Depth=1
	v_div_scale_f64 v[10:11], s[30:31], v[6:7], v[6:7], v[4:5]
	v_rcp_f64_e32 v[12:13], v[10:11]
	v_div_scale_f64 v[14:15], vcc, v[4:5], v[6:7], v[4:5]
	v_fma_f64 v[16:17], -v[10:11], v[12:13], 1.0
	v_fmac_f64_e32 v[12:13], v[12:13], v[16:17]
	v_fma_f64 v[16:17], -v[10:11], v[12:13], 1.0
	v_fmac_f64_e32 v[12:13], v[12:13], v[16:17]
	v_mul_f64 v[16:17], v[14:15], v[12:13]
	v_fma_f64 v[10:11], -v[10:11], v[16:17], v[14:15]
	v_div_fmas_f64 v[10:11], v[10:11], v[12:13], v[16:17]
	v_div_fixup_f64 v[4:5], v[10:11], v[6:7], v[4:5]
	v_fma_f64 v[4:5], v[4:5], v[4:5], 1.0
	v_cmp_gt_f64_e32 vcc, s[24:25], v[4:5]
	s_nop 1
	v_cndmask_b32_e32 v10, 0, v19, vcc
	v_ldexp_f64 v[4:5], v[4:5], v10
	v_rsq_f64_e32 v[10:11], v[4:5]
	s_nop 0
	v_mul_f64 v[12:13], v[4:5], v[10:11]
	v_mul_f64 v[10:11], v[10:11], 0.5
	v_fma_f64 v[14:15], -v[10:11], v[12:13], 0.5
	v_fmac_f64_e32 v[12:13], v[12:13], v[14:15]
	v_fma_f64 v[16:17], -v[12:13], v[12:13], v[4:5]
	v_fmac_f64_e32 v[10:11], v[10:11], v[14:15]
	v_fmac_f64_e32 v[12:13], v[16:17], v[10:11]
	v_fma_f64 v[14:15], -v[12:13], v[12:13], v[4:5]
	v_fmac_f64_e32 v[12:13], v[14:15], v[10:11]
	v_cndmask_b32_e32 v10, 0, v20, vcc
	v_ldexp_f64 v[10:11], v[12:13], v10
	v_cmp_class_f64_e32 vcc, v[4:5], v18
	s_nop 1
	v_cndmask_b32_e32 v5, v11, v5, vcc
	v_cndmask_b32_e32 v4, v10, v4, vcc
	v_mul_f64 v[10:11], v[6:7], v[4:5]
.LBB70_17:                              ;   in Loop: Header=BB70_3 Depth=1
	s_or_b64 exec, exec, s[28:29]
                                        ; implicit-def: $vgpr4_vgpr5
                                        ; implicit-def: $vgpr6_vgpr7
	s_andn2_saveexec_b64 s[0:1], s[0:1]
	s_cbranch_execz .LBB70_14
.LBB70_18:                              ;   in Loop: Header=BB70_3 Depth=1
	v_div_scale_f64 v[10:11], s[28:29], v[4:5], v[4:5], v[6:7]
	v_rcp_f64_e32 v[12:13], v[10:11]
	v_div_scale_f64 v[14:15], vcc, v[6:7], v[4:5], v[6:7]
	v_fma_f64 v[16:17], -v[10:11], v[12:13], 1.0
	v_fmac_f64_e32 v[12:13], v[12:13], v[16:17]
	v_fma_f64 v[16:17], -v[10:11], v[12:13], 1.0
	v_fmac_f64_e32 v[12:13], v[12:13], v[16:17]
	v_mul_f64 v[16:17], v[14:15], v[12:13]
	v_fma_f64 v[10:11], -v[10:11], v[16:17], v[14:15]
	v_div_fmas_f64 v[10:11], v[10:11], v[12:13], v[16:17]
	v_div_fixup_f64 v[6:7], v[10:11], v[4:5], v[6:7]
	v_fma_f64 v[6:7], v[6:7], v[6:7], 1.0
	v_cmp_gt_f64_e32 vcc, s[24:25], v[6:7]
	s_nop 1
	v_cndmask_b32_e32 v10, 0, v19, vcc
	v_ldexp_f64 v[6:7], v[6:7], v10
	v_rsq_f64_e32 v[10:11], v[6:7]
	s_nop 0
	v_mul_f64 v[12:13], v[6:7], v[10:11]
	v_mul_f64 v[10:11], v[10:11], 0.5
	v_fma_f64 v[14:15], -v[10:11], v[12:13], 0.5
	v_fmac_f64_e32 v[12:13], v[12:13], v[14:15]
	v_fma_f64 v[16:17], -v[12:13], v[12:13], v[6:7]
	v_fmac_f64_e32 v[10:11], v[10:11], v[14:15]
	v_fmac_f64_e32 v[12:13], v[16:17], v[10:11]
	v_fma_f64 v[14:15], -v[12:13], v[12:13], v[6:7]
	v_fmac_f64_e32 v[12:13], v[14:15], v[10:11]
	v_cndmask_b32_e32 v10, 0, v20, vcc
	v_ldexp_f64 v[10:11], v[12:13], v10
	v_cmp_class_f64_e32 vcc, v[6:7], v18
	s_nop 1
	v_cndmask_b32_e32 v7, v11, v7, vcc
	v_cndmask_b32_e32 v6, v10, v6, vcc
	v_mul_f64 v[10:11], v[4:5], v[6:7]
	s_or_b64 exec, exec, s[0:1]
	v_cmp_class_f64_e64 s[0:1], v[10:11], s36
	s_and_b64 exec, exec, s[0:1]
	s_cbranch_execz .LBB70_2
.LBB70_19:                              ;   in Loop: Header=BB70_3 Depth=1
	v_lshl_add_u64 v[4:5], v[8:9], 4, s[10:11]
	global_store_dwordx4 v[4:5], v[0:3], off
	s_branch .LBB70_2
.LBB70_20:
	s_endpgm
	.section	.rodata,"a",@progbits
	.p2align	6, 0x0
	.amdhsa_kernel _ZN9rocsparseL20kernel_calculate_cooILi1024ELi32ELb0E21rocsparse_complex_numIdEiiEEvT4_T3_PKS3_S6_PKT2_21rocsparse_index_base_PKS4_SC_S6_SC_SC_S6_SC_PS7_PNS_15floating_traitsIS7_E6data_tEPKSG_
		.amdhsa_group_segment_fixed_size 0
		.amdhsa_private_segment_fixed_size 0
		.amdhsa_kernarg_size 120
		.amdhsa_user_sgpr_count 2
		.amdhsa_user_sgpr_dispatch_ptr 0
		.amdhsa_user_sgpr_queue_ptr 0
		.amdhsa_user_sgpr_kernarg_segment_ptr 1
		.amdhsa_user_sgpr_dispatch_id 0
		.amdhsa_user_sgpr_kernarg_preload_length 0
		.amdhsa_user_sgpr_kernarg_preload_offset 0
		.amdhsa_user_sgpr_private_segment_size 0
		.amdhsa_uses_dynamic_stack 0
		.amdhsa_enable_private_segment 0
		.amdhsa_system_sgpr_workgroup_id_x 1
		.amdhsa_system_sgpr_workgroup_id_y 0
		.amdhsa_system_sgpr_workgroup_id_z 0
		.amdhsa_system_sgpr_workgroup_info 0
		.amdhsa_system_vgpr_workitem_id 0
		.amdhsa_next_free_vgpr 36
		.amdhsa_next_free_sgpr 37
		.amdhsa_accum_offset 36
		.amdhsa_reserve_vcc 1
		.amdhsa_float_round_mode_32 0
		.amdhsa_float_round_mode_16_64 0
		.amdhsa_float_denorm_mode_32 3
		.amdhsa_float_denorm_mode_16_64 3
		.amdhsa_dx10_clamp 1
		.amdhsa_ieee_mode 1
		.amdhsa_fp16_overflow 0
		.amdhsa_tg_split 0
		.amdhsa_exception_fp_ieee_invalid_op 0
		.amdhsa_exception_fp_denorm_src 0
		.amdhsa_exception_fp_ieee_div_zero 0
		.amdhsa_exception_fp_ieee_overflow 0
		.amdhsa_exception_fp_ieee_underflow 0
		.amdhsa_exception_fp_ieee_inexact 0
		.amdhsa_exception_int_div_zero 0
	.end_amdhsa_kernel
	.section	.text._ZN9rocsparseL20kernel_calculate_cooILi1024ELi32ELb0E21rocsparse_complex_numIdEiiEEvT4_T3_PKS3_S6_PKT2_21rocsparse_index_base_PKS4_SC_S6_SC_SC_S6_SC_PS7_PNS_15floating_traitsIS7_E6data_tEPKSG_,"axG",@progbits,_ZN9rocsparseL20kernel_calculate_cooILi1024ELi32ELb0E21rocsparse_complex_numIdEiiEEvT4_T3_PKS3_S6_PKT2_21rocsparse_index_base_PKS4_SC_S6_SC_SC_S6_SC_PS7_PNS_15floating_traitsIS7_E6data_tEPKSG_,comdat
.Lfunc_end70:
	.size	_ZN9rocsparseL20kernel_calculate_cooILi1024ELi32ELb0E21rocsparse_complex_numIdEiiEEvT4_T3_PKS3_S6_PKT2_21rocsparse_index_base_PKS4_SC_S6_SC_SC_S6_SC_PS7_PNS_15floating_traitsIS7_E6data_tEPKSG_, .Lfunc_end70-_ZN9rocsparseL20kernel_calculate_cooILi1024ELi32ELb0E21rocsparse_complex_numIdEiiEEvT4_T3_PKS3_S6_PKT2_21rocsparse_index_base_PKS4_SC_S6_SC_SC_S6_SC_PS7_PNS_15floating_traitsIS7_E6data_tEPKSG_
                                        ; -- End function
	.set _ZN9rocsparseL20kernel_calculate_cooILi1024ELi32ELb0E21rocsparse_complex_numIdEiiEEvT4_T3_PKS3_S6_PKT2_21rocsparse_index_base_PKS4_SC_S6_SC_SC_S6_SC_PS7_PNS_15floating_traitsIS7_E6data_tEPKSG_.num_vgpr, 36
	.set _ZN9rocsparseL20kernel_calculate_cooILi1024ELi32ELb0E21rocsparse_complex_numIdEiiEEvT4_T3_PKS3_S6_PKT2_21rocsparse_index_base_PKS4_SC_S6_SC_SC_S6_SC_PS7_PNS_15floating_traitsIS7_E6data_tEPKSG_.num_agpr, 0
	.set _ZN9rocsparseL20kernel_calculate_cooILi1024ELi32ELb0E21rocsparse_complex_numIdEiiEEvT4_T3_PKS3_S6_PKT2_21rocsparse_index_base_PKS4_SC_S6_SC_SC_S6_SC_PS7_PNS_15floating_traitsIS7_E6data_tEPKSG_.numbered_sgpr, 37
	.set _ZN9rocsparseL20kernel_calculate_cooILi1024ELi32ELb0E21rocsparse_complex_numIdEiiEEvT4_T3_PKS3_S6_PKT2_21rocsparse_index_base_PKS4_SC_S6_SC_SC_S6_SC_PS7_PNS_15floating_traitsIS7_E6data_tEPKSG_.num_named_barrier, 0
	.set _ZN9rocsparseL20kernel_calculate_cooILi1024ELi32ELb0E21rocsparse_complex_numIdEiiEEvT4_T3_PKS3_S6_PKT2_21rocsparse_index_base_PKS4_SC_S6_SC_SC_S6_SC_PS7_PNS_15floating_traitsIS7_E6data_tEPKSG_.private_seg_size, 0
	.set _ZN9rocsparseL20kernel_calculate_cooILi1024ELi32ELb0E21rocsparse_complex_numIdEiiEEvT4_T3_PKS3_S6_PKT2_21rocsparse_index_base_PKS4_SC_S6_SC_SC_S6_SC_PS7_PNS_15floating_traitsIS7_E6data_tEPKSG_.uses_vcc, 1
	.set _ZN9rocsparseL20kernel_calculate_cooILi1024ELi32ELb0E21rocsparse_complex_numIdEiiEEvT4_T3_PKS3_S6_PKT2_21rocsparse_index_base_PKS4_SC_S6_SC_SC_S6_SC_PS7_PNS_15floating_traitsIS7_E6data_tEPKSG_.uses_flat_scratch, 0
	.set _ZN9rocsparseL20kernel_calculate_cooILi1024ELi32ELb0E21rocsparse_complex_numIdEiiEEvT4_T3_PKS3_S6_PKT2_21rocsparse_index_base_PKS4_SC_S6_SC_SC_S6_SC_PS7_PNS_15floating_traitsIS7_E6data_tEPKSG_.has_dyn_sized_stack, 0
	.set _ZN9rocsparseL20kernel_calculate_cooILi1024ELi32ELb0E21rocsparse_complex_numIdEiiEEvT4_T3_PKS3_S6_PKT2_21rocsparse_index_base_PKS4_SC_S6_SC_SC_S6_SC_PS7_PNS_15floating_traitsIS7_E6data_tEPKSG_.has_recursion, 0
	.set _ZN9rocsparseL20kernel_calculate_cooILi1024ELi32ELb0E21rocsparse_complex_numIdEiiEEvT4_T3_PKS3_S6_PKT2_21rocsparse_index_base_PKS4_SC_S6_SC_SC_S6_SC_PS7_PNS_15floating_traitsIS7_E6data_tEPKSG_.has_indirect_call, 0
	.section	.AMDGPU.csdata,"",@progbits
; Kernel info:
; codeLenInByte = 1396
; TotalNumSgprs: 43
; NumVgprs: 36
; NumAgprs: 0
; TotalNumVgprs: 36
; ScratchSize: 0
; MemoryBound: 1
; FloatMode: 240
; IeeeMode: 1
; LDSByteSize: 0 bytes/workgroup (compile time only)
; SGPRBlocks: 5
; VGPRBlocks: 4
; NumSGPRsForWavesPerEU: 43
; NumVGPRsForWavesPerEU: 36
; AccumOffset: 36
; Occupancy: 8
; WaveLimiterHint : 1
; COMPUTE_PGM_RSRC2:SCRATCH_EN: 0
; COMPUTE_PGM_RSRC2:USER_SGPR: 2
; COMPUTE_PGM_RSRC2:TRAP_HANDLER: 0
; COMPUTE_PGM_RSRC2:TGID_X_EN: 1
; COMPUTE_PGM_RSRC2:TGID_Y_EN: 0
; COMPUTE_PGM_RSRC2:TGID_Z_EN: 0
; COMPUTE_PGM_RSRC2:TIDIG_COMP_CNT: 0
; COMPUTE_PGM_RSRC3_GFX90A:ACCUM_OFFSET: 8
; COMPUTE_PGM_RSRC3_GFX90A:TG_SPLIT: 0
	.section	.text._ZN9rocsparseL20kernel_calculate_cooILi1024ELi64ELb0E21rocsparse_complex_numIdEiiEEvT4_T3_PKS3_S6_PKT2_21rocsparse_index_base_PKS4_SC_S6_SC_SC_S6_SC_PS7_PNS_15floating_traitsIS7_E6data_tEPKSG_,"axG",@progbits,_ZN9rocsparseL20kernel_calculate_cooILi1024ELi64ELb0E21rocsparse_complex_numIdEiiEEvT4_T3_PKS3_S6_PKT2_21rocsparse_index_base_PKS4_SC_S6_SC_SC_S6_SC_PS7_PNS_15floating_traitsIS7_E6data_tEPKSG_,comdat
	.globl	_ZN9rocsparseL20kernel_calculate_cooILi1024ELi64ELb0E21rocsparse_complex_numIdEiiEEvT4_T3_PKS3_S6_PKT2_21rocsparse_index_base_PKS4_SC_S6_SC_SC_S6_SC_PS7_PNS_15floating_traitsIS7_E6data_tEPKSG_ ; -- Begin function _ZN9rocsparseL20kernel_calculate_cooILi1024ELi64ELb0E21rocsparse_complex_numIdEiiEEvT4_T3_PKS3_S6_PKT2_21rocsparse_index_base_PKS4_SC_S6_SC_SC_S6_SC_PS7_PNS_15floating_traitsIS7_E6data_tEPKSG_
	.p2align	8
	.type	_ZN9rocsparseL20kernel_calculate_cooILi1024ELi64ELb0E21rocsparse_complex_numIdEiiEEvT4_T3_PKS3_S6_PKT2_21rocsparse_index_base_PKS4_SC_S6_SC_SC_S6_SC_PS7_PNS_15floating_traitsIS7_E6data_tEPKSG_,@function
_ZN9rocsparseL20kernel_calculate_cooILi1024ELi64ELb0E21rocsparse_complex_numIdEiiEEvT4_T3_PKS3_S6_PKT2_21rocsparse_index_base_PKS4_SC_S6_SC_SC_S6_SC_PS7_PNS_15floating_traitsIS7_E6data_tEPKSG_: ; @_ZN9rocsparseL20kernel_calculate_cooILi1024ELi64ELb0E21rocsparse_complex_numIdEiiEEvT4_T3_PKS3_S6_PKT2_21rocsparse_index_base_PKS4_SC_S6_SC_SC_S6_SC_PS7_PNS_15floating_traitsIS7_E6data_tEPKSG_
; %bb.0:
	s_load_dword s33, s[0:1], 0x4
	v_lshl_or_b32 v8, s2, 16, v0
	s_waitcnt lgkmcnt(0)
	v_cmp_gt_i32_e32 vcc, s33, v8
	s_and_saveexec_b64 s[2:3], vcc
	s_cbranch_execz .LBB71_20
; %bb.1:
	s_load_dwordx8 s[4:11], s[0:1], 0x48
	s_load_dwordx4 s[20:23], s[0:1], 0x8
	s_load_dwordx2 s[2:3], s[0:1], 0x18
	s_load_dwordx8 s[12:19], s[0:1], 0x28
	s_load_dword s34, s[0:1], 0x20
	s_mov_b32 s24, 0
	s_mov_b32 s35, 0
	s_brev_b32 s25, 8
	v_mov_b32_e32 v18, 0x260
	s_movk_i32 s36, 0x1f8
	v_mov_b32_e32 v19, 0x100
	v_mov_b32_e32 v20, 0xffffff80
	s_branch .LBB71_3
.LBB71_2:                               ;   in Loop: Header=BB71_3 Depth=1
	s_or_b64 exec, exec, s[26:27]
	s_add_i32 s35, s35, 1
	s_cmp_lg_u32 s35, 64
	v_add_u32_e32 v8, 0x400, v8
	s_cbranch_scc0 .LBB71_20
.LBB71_3:                               ; =>This Loop Header: Depth=1
                                        ;     Child Loop BB71_7 Depth 2
	v_cmp_gt_i32_e32 vcc, s33, v8
	s_and_saveexec_b64 s[26:27], vcc
	s_cbranch_execz .LBB71_2
; %bb.4:                                ;   in Loop: Header=BB71_3 Depth=1
	v_ashrrev_i32_e32 v9, 31, v8
	v_lshlrev_b64 v[0:1], 2, v[8:9]
	s_waitcnt lgkmcnt(0)
	v_lshl_add_u64 v[2:3], s[22:23], 0, v[0:1]
	global_load_dword v21, v[2:3], off
	v_lshl_add_u64 v[0:1], s[20:21], 0, v[0:1]
	global_load_dword v22, v[0:1], off
	s_waitcnt vmcnt(1)
	v_subrev_u32_e32 v0, s34, v21
	v_ashrrev_i32_e32 v1, 31, v0
	v_lshlrev_b64 v[4:5], 2, v[0:1]
	v_lshl_add_u64 v[0:1], s[14:15], 0, v[4:5]
	global_load_dword v12, v[0:1], off
	s_waitcnt vmcnt(1)
	v_subrev_u32_e32 v0, s34, v22
	v_ashrrev_i32_e32 v1, 31, v0
	v_lshlrev_b64 v[6:7], 2, v[0:1]
	v_lshl_add_u64 v[10:11], s[4:5], 0, v[4:5]
	v_lshl_add_u64 v[4:5], s[18:19], 0, v[4:5]
	;; [unrolled: 1-line block ×4, first 2 shown]
	global_load_dword v17, v[4:5], off
	global_load_dword v14, v[0:1], off
	;; [unrolled: 1-line block ×4, first 2 shown]
	v_lshl_add_u64 v[0:1], v[8:9], 4, s[2:3]
	global_load_dwordx4 v[0:3], v[0:1], off
	v_mov_b64_e32 v[10:11], 0
	s_waitcnt vmcnt(5)
	v_subrev_u32_e32 v4, s34, v12
	v_ashrrev_i32_e32 v5, 31, v4
	v_lshl_add_u64 v[4:5], v[4:5], 4, s[10:11]
	global_load_dwordx4 v[4:7], v[4:5], off
	v_mov_b64_e32 v[12:13], 0
	s_waitcnt vmcnt(3)
	v_cmp_lt_i32_e64 s[0:1], v17, v15
	s_waitcnt vmcnt(2)
	v_cmp_lt_i32_e32 vcc, v16, v14
	s_and_b64 s[0:1], vcc, s[0:1]
	s_and_saveexec_b64 s[28:29], s[0:1]
	s_cbranch_execz .LBB71_10
; %bb.5:                                ;   in Loop: Header=BB71_3 Depth=1
	v_subrev_u32_e32 v23, s34, v15
	v_subrev_u32_e32 v24, s34, v14
	;; [unrolled: 1-line block ×4, first 2 shown]
	v_mov_b64_e32 v[10:11], 0
	s_mov_b64 s[30:31], 0
	v_mov_b64_e32 v[12:13], 0
	s_branch .LBB71_7
.LBB71_6:                               ;   in Loop: Header=BB71_7 Depth=2
	s_or_b64 exec, exec, s[0:1]
	v_cmp_le_i32_e32 vcc, v25, v26
	s_nop 1
	v_addc_co_u32_e32 v16, vcc, 0, v16, vcc
	v_cmp_ge_i32_e32 vcc, v25, v26
	s_nop 1
	v_addc_co_u32_e32 v14, vcc, 0, v14, vcc
	v_cmp_ge_i32_e32 vcc, v16, v24
	v_cmp_ge_i32_e64 s[0:1], v14, v23
	s_or_b64 s[0:1], vcc, s[0:1]
	s_and_b64 s[0:1], exec, s[0:1]
	s_or_b64 s[30:31], s[0:1], s[30:31]
	s_andn2_b64 exec, exec, s[30:31]
	s_cbranch_execz .LBB71_9
.LBB71_7:                               ;   Parent Loop BB71_3 Depth=1
                                        ; =>  This Inner Loop Header: Depth=2
	v_ashrrev_i32_e32 v17, 31, v16
	v_lshl_add_u64 v[26:27], v[16:17], 2, s[16:17]
	v_ashrrev_i32_e32 v15, 31, v14
	global_load_dword v25, v[26:27], off
	v_lshl_add_u64 v[26:27], v[14:15], 2, s[6:7]
	global_load_dword v26, v[26:27], off
	s_waitcnt vmcnt(0)
	v_cmp_eq_u32_e32 vcc, v25, v26
	s_and_saveexec_b64 s[0:1], vcc
	s_cbranch_execz .LBB71_6
; %bb.8:                                ;   in Loop: Header=BB71_7 Depth=2
	v_lshl_add_u64 v[28:29], v[14:15], 2, s[8:9]
	global_load_dword v32, v[28:29], off
	v_lshl_add_u64 v[28:29], v[16:17], 4, s[10:11]
	global_load_dwordx4 v[28:31], v[28:29], off
	s_waitcnt vmcnt(1)
	v_ashrrev_i32_e32 v33, 31, v32
	v_lshl_add_u64 v[32:33], v[32:33], 4, s[10:11]
	global_load_dwordx4 v[32:35], v[32:33], off
	s_waitcnt vmcnt(0)
	v_fmac_f64_e32 v[10:11], v[28:29], v[32:33]
	v_fmac_f64_e32 v[12:13], v[30:31], v[32:33]
	v_fma_f64 v[10:11], -v[30:31], v[34:35], v[10:11]
	v_fmac_f64_e32 v[12:13], v[28:29], v[34:35]
	s_branch .LBB71_6
.LBB71_9:                               ;   in Loop: Header=BB71_3 Depth=1
	s_or_b64 exec, exec, s[30:31]
.LBB71_10:                              ;   in Loop: Header=BB71_3 Depth=1
	s_or_b64 exec, exec, s[28:29]
	s_waitcnt vmcnt(1)
	v_add_f64 v[0:1], v[0:1], -v[10:11]
	v_add_f64 v[2:3], v[2:3], -v[12:13]
	v_cmp_gt_i32_e32 vcc, v22, v21
	s_and_saveexec_b64 s[0:1], vcc
	s_cbranch_execz .LBB71_12
; %bb.11:                               ;   in Loop: Header=BB71_3 Depth=1
	s_waitcnt vmcnt(0)
	v_mul_f64 v[10:11], v[6:7], v[6:7]
	v_fmac_f64_e32 v[10:11], v[4:5], v[4:5]
	v_div_scale_f64 v[12:13], s[28:29], v[10:11], v[10:11], 1.0
	v_rcp_f64_e32 v[14:15], v[12:13]
	v_div_scale_f64 v[16:17], vcc, 1.0, v[10:11], 1.0
	v_fma_f64 v[22:23], -v[12:13], v[14:15], 1.0
	v_fmac_f64_e32 v[14:15], v[14:15], v[22:23]
	v_fma_f64 v[22:23], -v[12:13], v[14:15], 1.0
	v_fmac_f64_e32 v[14:15], v[14:15], v[22:23]
	v_mul_f64 v[22:23], v[16:17], v[14:15]
	v_fma_f64 v[12:13], -v[12:13], v[22:23], v[16:17]
	v_div_fmas_f64 v[12:13], v[12:13], v[14:15], v[22:23]
	v_div_fixup_f64 v[10:11], v[12:13], v[10:11], 1.0
	v_mul_f64 v[12:13], v[6:7], v[2:3]
	v_fmac_f64_e32 v[12:13], v[0:1], v[4:5]
	v_mul_f64 v[0:1], v[6:7], -v[0:1]
	v_mul_f64 v[12:13], v[10:11], v[12:13]
	v_fmac_f64_e32 v[0:1], v[2:3], v[4:5]
	v_mul_f64 v[2:3], v[10:11], v[0:1]
	v_mov_b64_e32 v[0:1], v[12:13]
.LBB71_12:                              ;   in Loop: Header=BB71_3 Depth=1
	s_or_b64 exec, exec, s[0:1]
	s_waitcnt vmcnt(0)
	v_xor_b32_e32 v4, 0x80000000, v1
	v_cmp_gt_f64_e32 vcc, 0, v[0:1]
	v_xor_b32_e32 v6, 0x80000000, v3
                                        ; implicit-def: $vgpr10_vgpr11
	s_nop 0
	v_cndmask_b32_e32 v5, v1, v4, vcc
	v_cmp_gt_f64_e32 vcc, 0, v[2:3]
	v_mov_b32_e32 v4, v0
	s_nop 0
	v_cndmask_b32_e32 v7, v3, v6, vcc
	v_mov_b32_e32 v6, v2
	v_cmp_ngt_f64_e32 vcc, v[4:5], v[6:7]
	s_and_saveexec_b64 s[0:1], vcc
	s_xor_b64 s[0:1], exec, s[0:1]
	s_cbranch_execnz .LBB71_15
; %bb.13:                               ;   in Loop: Header=BB71_3 Depth=1
	s_andn2_saveexec_b64 s[0:1], s[0:1]
	s_cbranch_execnz .LBB71_18
.LBB71_14:                              ;   in Loop: Header=BB71_3 Depth=1
	s_or_b64 exec, exec, s[0:1]
	v_cmp_class_f64_e64 s[0:1], v[10:11], s36
	s_and_b64 exec, exec, s[0:1]
	s_cbranch_execz .LBB71_2
	s_branch .LBB71_19
.LBB71_15:                              ;   in Loop: Header=BB71_3 Depth=1
	v_mov_b64_e32 v[10:11], 0
	v_cmp_neq_f64_e32 vcc, 0, v[2:3]
	s_and_saveexec_b64 s[28:29], vcc
	s_cbranch_execz .LBB71_17
; %bb.16:                               ;   in Loop: Header=BB71_3 Depth=1
	v_div_scale_f64 v[10:11], s[30:31], v[6:7], v[6:7], v[4:5]
	v_rcp_f64_e32 v[12:13], v[10:11]
	v_div_scale_f64 v[14:15], vcc, v[4:5], v[6:7], v[4:5]
	v_fma_f64 v[16:17], -v[10:11], v[12:13], 1.0
	v_fmac_f64_e32 v[12:13], v[12:13], v[16:17]
	v_fma_f64 v[16:17], -v[10:11], v[12:13], 1.0
	v_fmac_f64_e32 v[12:13], v[12:13], v[16:17]
	v_mul_f64 v[16:17], v[14:15], v[12:13]
	v_fma_f64 v[10:11], -v[10:11], v[16:17], v[14:15]
	v_div_fmas_f64 v[10:11], v[10:11], v[12:13], v[16:17]
	v_div_fixup_f64 v[4:5], v[10:11], v[6:7], v[4:5]
	v_fma_f64 v[4:5], v[4:5], v[4:5], 1.0
	v_cmp_gt_f64_e32 vcc, s[24:25], v[4:5]
	s_nop 1
	v_cndmask_b32_e32 v10, 0, v19, vcc
	v_ldexp_f64 v[4:5], v[4:5], v10
	v_rsq_f64_e32 v[10:11], v[4:5]
	s_nop 0
	v_mul_f64 v[12:13], v[4:5], v[10:11]
	v_mul_f64 v[10:11], v[10:11], 0.5
	v_fma_f64 v[14:15], -v[10:11], v[12:13], 0.5
	v_fmac_f64_e32 v[12:13], v[12:13], v[14:15]
	v_fma_f64 v[16:17], -v[12:13], v[12:13], v[4:5]
	v_fmac_f64_e32 v[10:11], v[10:11], v[14:15]
	v_fmac_f64_e32 v[12:13], v[16:17], v[10:11]
	v_fma_f64 v[14:15], -v[12:13], v[12:13], v[4:5]
	v_fmac_f64_e32 v[12:13], v[14:15], v[10:11]
	v_cndmask_b32_e32 v10, 0, v20, vcc
	v_ldexp_f64 v[10:11], v[12:13], v10
	v_cmp_class_f64_e32 vcc, v[4:5], v18
	s_nop 1
	v_cndmask_b32_e32 v5, v11, v5, vcc
	v_cndmask_b32_e32 v4, v10, v4, vcc
	v_mul_f64 v[10:11], v[6:7], v[4:5]
.LBB71_17:                              ;   in Loop: Header=BB71_3 Depth=1
	s_or_b64 exec, exec, s[28:29]
                                        ; implicit-def: $vgpr4_vgpr5
                                        ; implicit-def: $vgpr6_vgpr7
	s_andn2_saveexec_b64 s[0:1], s[0:1]
	s_cbranch_execz .LBB71_14
.LBB71_18:                              ;   in Loop: Header=BB71_3 Depth=1
	v_div_scale_f64 v[10:11], s[28:29], v[4:5], v[4:5], v[6:7]
	v_rcp_f64_e32 v[12:13], v[10:11]
	v_div_scale_f64 v[14:15], vcc, v[6:7], v[4:5], v[6:7]
	v_fma_f64 v[16:17], -v[10:11], v[12:13], 1.0
	v_fmac_f64_e32 v[12:13], v[12:13], v[16:17]
	v_fma_f64 v[16:17], -v[10:11], v[12:13], 1.0
	v_fmac_f64_e32 v[12:13], v[12:13], v[16:17]
	v_mul_f64 v[16:17], v[14:15], v[12:13]
	v_fma_f64 v[10:11], -v[10:11], v[16:17], v[14:15]
	v_div_fmas_f64 v[10:11], v[10:11], v[12:13], v[16:17]
	v_div_fixup_f64 v[6:7], v[10:11], v[4:5], v[6:7]
	v_fma_f64 v[6:7], v[6:7], v[6:7], 1.0
	v_cmp_gt_f64_e32 vcc, s[24:25], v[6:7]
	s_nop 1
	v_cndmask_b32_e32 v10, 0, v19, vcc
	v_ldexp_f64 v[6:7], v[6:7], v10
	v_rsq_f64_e32 v[10:11], v[6:7]
	s_nop 0
	v_mul_f64 v[12:13], v[6:7], v[10:11]
	v_mul_f64 v[10:11], v[10:11], 0.5
	v_fma_f64 v[14:15], -v[10:11], v[12:13], 0.5
	v_fmac_f64_e32 v[12:13], v[12:13], v[14:15]
	v_fma_f64 v[16:17], -v[12:13], v[12:13], v[6:7]
	v_fmac_f64_e32 v[10:11], v[10:11], v[14:15]
	v_fmac_f64_e32 v[12:13], v[16:17], v[10:11]
	v_fma_f64 v[14:15], -v[12:13], v[12:13], v[6:7]
	v_fmac_f64_e32 v[12:13], v[14:15], v[10:11]
	v_cndmask_b32_e32 v10, 0, v20, vcc
	v_ldexp_f64 v[10:11], v[12:13], v10
	v_cmp_class_f64_e32 vcc, v[6:7], v18
	s_nop 1
	v_cndmask_b32_e32 v7, v11, v7, vcc
	v_cndmask_b32_e32 v6, v10, v6, vcc
	v_mul_f64 v[10:11], v[4:5], v[6:7]
	s_or_b64 exec, exec, s[0:1]
	v_cmp_class_f64_e64 s[0:1], v[10:11], s36
	s_and_b64 exec, exec, s[0:1]
	s_cbranch_execz .LBB71_2
.LBB71_19:                              ;   in Loop: Header=BB71_3 Depth=1
	v_lshl_add_u64 v[4:5], v[8:9], 4, s[10:11]
	global_store_dwordx4 v[4:5], v[0:3], off
	s_branch .LBB71_2
.LBB71_20:
	s_endpgm
	.section	.rodata,"a",@progbits
	.p2align	6, 0x0
	.amdhsa_kernel _ZN9rocsparseL20kernel_calculate_cooILi1024ELi64ELb0E21rocsparse_complex_numIdEiiEEvT4_T3_PKS3_S6_PKT2_21rocsparse_index_base_PKS4_SC_S6_SC_SC_S6_SC_PS7_PNS_15floating_traitsIS7_E6data_tEPKSG_
		.amdhsa_group_segment_fixed_size 0
		.amdhsa_private_segment_fixed_size 0
		.amdhsa_kernarg_size 120
		.amdhsa_user_sgpr_count 2
		.amdhsa_user_sgpr_dispatch_ptr 0
		.amdhsa_user_sgpr_queue_ptr 0
		.amdhsa_user_sgpr_kernarg_segment_ptr 1
		.amdhsa_user_sgpr_dispatch_id 0
		.amdhsa_user_sgpr_kernarg_preload_length 0
		.amdhsa_user_sgpr_kernarg_preload_offset 0
		.amdhsa_user_sgpr_private_segment_size 0
		.amdhsa_uses_dynamic_stack 0
		.amdhsa_enable_private_segment 0
		.amdhsa_system_sgpr_workgroup_id_x 1
		.amdhsa_system_sgpr_workgroup_id_y 0
		.amdhsa_system_sgpr_workgroup_id_z 0
		.amdhsa_system_sgpr_workgroup_info 0
		.amdhsa_system_vgpr_workitem_id 0
		.amdhsa_next_free_vgpr 36
		.amdhsa_next_free_sgpr 37
		.amdhsa_accum_offset 36
		.amdhsa_reserve_vcc 1
		.amdhsa_float_round_mode_32 0
		.amdhsa_float_round_mode_16_64 0
		.amdhsa_float_denorm_mode_32 3
		.amdhsa_float_denorm_mode_16_64 3
		.amdhsa_dx10_clamp 1
		.amdhsa_ieee_mode 1
		.amdhsa_fp16_overflow 0
		.amdhsa_tg_split 0
		.amdhsa_exception_fp_ieee_invalid_op 0
		.amdhsa_exception_fp_denorm_src 0
		.amdhsa_exception_fp_ieee_div_zero 0
		.amdhsa_exception_fp_ieee_overflow 0
		.amdhsa_exception_fp_ieee_underflow 0
		.amdhsa_exception_fp_ieee_inexact 0
		.amdhsa_exception_int_div_zero 0
	.end_amdhsa_kernel
	.section	.text._ZN9rocsparseL20kernel_calculate_cooILi1024ELi64ELb0E21rocsparse_complex_numIdEiiEEvT4_T3_PKS3_S6_PKT2_21rocsparse_index_base_PKS4_SC_S6_SC_SC_S6_SC_PS7_PNS_15floating_traitsIS7_E6data_tEPKSG_,"axG",@progbits,_ZN9rocsparseL20kernel_calculate_cooILi1024ELi64ELb0E21rocsparse_complex_numIdEiiEEvT4_T3_PKS3_S6_PKT2_21rocsparse_index_base_PKS4_SC_S6_SC_SC_S6_SC_PS7_PNS_15floating_traitsIS7_E6data_tEPKSG_,comdat
.Lfunc_end71:
	.size	_ZN9rocsparseL20kernel_calculate_cooILi1024ELi64ELb0E21rocsparse_complex_numIdEiiEEvT4_T3_PKS3_S6_PKT2_21rocsparse_index_base_PKS4_SC_S6_SC_SC_S6_SC_PS7_PNS_15floating_traitsIS7_E6data_tEPKSG_, .Lfunc_end71-_ZN9rocsparseL20kernel_calculate_cooILi1024ELi64ELb0E21rocsparse_complex_numIdEiiEEvT4_T3_PKS3_S6_PKT2_21rocsparse_index_base_PKS4_SC_S6_SC_SC_S6_SC_PS7_PNS_15floating_traitsIS7_E6data_tEPKSG_
                                        ; -- End function
	.set _ZN9rocsparseL20kernel_calculate_cooILi1024ELi64ELb0E21rocsparse_complex_numIdEiiEEvT4_T3_PKS3_S6_PKT2_21rocsparse_index_base_PKS4_SC_S6_SC_SC_S6_SC_PS7_PNS_15floating_traitsIS7_E6data_tEPKSG_.num_vgpr, 36
	.set _ZN9rocsparseL20kernel_calculate_cooILi1024ELi64ELb0E21rocsparse_complex_numIdEiiEEvT4_T3_PKS3_S6_PKT2_21rocsparse_index_base_PKS4_SC_S6_SC_SC_S6_SC_PS7_PNS_15floating_traitsIS7_E6data_tEPKSG_.num_agpr, 0
	.set _ZN9rocsparseL20kernel_calculate_cooILi1024ELi64ELb0E21rocsparse_complex_numIdEiiEEvT4_T3_PKS3_S6_PKT2_21rocsparse_index_base_PKS4_SC_S6_SC_SC_S6_SC_PS7_PNS_15floating_traitsIS7_E6data_tEPKSG_.numbered_sgpr, 37
	.set _ZN9rocsparseL20kernel_calculate_cooILi1024ELi64ELb0E21rocsparse_complex_numIdEiiEEvT4_T3_PKS3_S6_PKT2_21rocsparse_index_base_PKS4_SC_S6_SC_SC_S6_SC_PS7_PNS_15floating_traitsIS7_E6data_tEPKSG_.num_named_barrier, 0
	.set _ZN9rocsparseL20kernel_calculate_cooILi1024ELi64ELb0E21rocsparse_complex_numIdEiiEEvT4_T3_PKS3_S6_PKT2_21rocsparse_index_base_PKS4_SC_S6_SC_SC_S6_SC_PS7_PNS_15floating_traitsIS7_E6data_tEPKSG_.private_seg_size, 0
	.set _ZN9rocsparseL20kernel_calculate_cooILi1024ELi64ELb0E21rocsparse_complex_numIdEiiEEvT4_T3_PKS3_S6_PKT2_21rocsparse_index_base_PKS4_SC_S6_SC_SC_S6_SC_PS7_PNS_15floating_traitsIS7_E6data_tEPKSG_.uses_vcc, 1
	.set _ZN9rocsparseL20kernel_calculate_cooILi1024ELi64ELb0E21rocsparse_complex_numIdEiiEEvT4_T3_PKS3_S6_PKT2_21rocsparse_index_base_PKS4_SC_S6_SC_SC_S6_SC_PS7_PNS_15floating_traitsIS7_E6data_tEPKSG_.uses_flat_scratch, 0
	.set _ZN9rocsparseL20kernel_calculate_cooILi1024ELi64ELb0E21rocsparse_complex_numIdEiiEEvT4_T3_PKS3_S6_PKT2_21rocsparse_index_base_PKS4_SC_S6_SC_SC_S6_SC_PS7_PNS_15floating_traitsIS7_E6data_tEPKSG_.has_dyn_sized_stack, 0
	.set _ZN9rocsparseL20kernel_calculate_cooILi1024ELi64ELb0E21rocsparse_complex_numIdEiiEEvT4_T3_PKS3_S6_PKT2_21rocsparse_index_base_PKS4_SC_S6_SC_SC_S6_SC_PS7_PNS_15floating_traitsIS7_E6data_tEPKSG_.has_recursion, 0
	.set _ZN9rocsparseL20kernel_calculate_cooILi1024ELi64ELb0E21rocsparse_complex_numIdEiiEEvT4_T3_PKS3_S6_PKT2_21rocsparse_index_base_PKS4_SC_S6_SC_SC_S6_SC_PS7_PNS_15floating_traitsIS7_E6data_tEPKSG_.has_indirect_call, 0
	.section	.AMDGPU.csdata,"",@progbits
; Kernel info:
; codeLenInByte = 1396
; TotalNumSgprs: 43
; NumVgprs: 36
; NumAgprs: 0
; TotalNumVgprs: 36
; ScratchSize: 0
; MemoryBound: 1
; FloatMode: 240
; IeeeMode: 1
; LDSByteSize: 0 bytes/workgroup (compile time only)
; SGPRBlocks: 5
; VGPRBlocks: 4
; NumSGPRsForWavesPerEU: 43
; NumVGPRsForWavesPerEU: 36
; AccumOffset: 36
; Occupancy: 8
; WaveLimiterHint : 1
; COMPUTE_PGM_RSRC2:SCRATCH_EN: 0
; COMPUTE_PGM_RSRC2:USER_SGPR: 2
; COMPUTE_PGM_RSRC2:TRAP_HANDLER: 0
; COMPUTE_PGM_RSRC2:TGID_X_EN: 1
; COMPUTE_PGM_RSRC2:TGID_Y_EN: 0
; COMPUTE_PGM_RSRC2:TGID_Z_EN: 0
; COMPUTE_PGM_RSRC2:TIDIG_COMP_CNT: 0
; COMPUTE_PGM_RSRC3_GFX90A:ACCUM_OFFSET: 8
; COMPUTE_PGM_RSRC3_GFX90A:TG_SPLIT: 0
	.section	.text._ZN9rocsparseL19kernel_compute_unnzILj1024ELj32EiiEEvT2_PKT1_S4_PKS1_21rocsparse_index_base_PS2_S8_,"axG",@progbits,_ZN9rocsparseL19kernel_compute_unnzILj1024ELj32EiiEEvT2_PKT1_S4_PKS1_21rocsparse_index_base_PS2_S8_,comdat
	.globl	_ZN9rocsparseL19kernel_compute_unnzILj1024ELj32EiiEEvT2_PKT1_S4_PKS1_21rocsparse_index_base_PS2_S8_ ; -- Begin function _ZN9rocsparseL19kernel_compute_unnzILj1024ELj32EiiEEvT2_PKT1_S4_PKS1_21rocsparse_index_base_PS2_S8_
	.p2align	8
	.type	_ZN9rocsparseL19kernel_compute_unnzILj1024ELj32EiiEEvT2_PKT1_S4_PKS1_21rocsparse_index_base_PS2_S8_,@function
_ZN9rocsparseL19kernel_compute_unnzILj1024ELj32EiiEEvT2_PKT1_S4_PKS1_21rocsparse_index_base_PS2_S8_: ; @_ZN9rocsparseL19kernel_compute_unnzILj1024ELj32EiiEEvT2_PKT1_S4_PKS1_21rocsparse_index_base_PS2_S8_
; %bb.0:
	s_load_dword s3, s[0:1], 0x44
	s_load_dword s4, s[0:1], 0x0
	s_load_dwordx2 s[22:23], s[0:1], 0x30
	v_mov_b32_e32 v1, 0
	v_mov_b32_e32 v8, 0
	s_waitcnt lgkmcnt(0)
	s_and_b32 s3, s3, 0xffff
	s_mul_i32 s2, s2, s3
	v_add_u32_e32 v2, s2, v0
	v_cmp_gt_i32_e32 vcc, s4, v2
	s_and_saveexec_b64 s[12:13], vcc
	s_cbranch_execz .LBB72_16
; %bb.1:
	s_load_dwordx4 s[4:7], s[0:1], 0x8
	v_ashrrev_i32_e32 v3, 31, v2
	v_lshlrev_b64 v[4:5], 2, v[2:3]
	v_mov_b32_e32 v1, 0
	s_waitcnt lgkmcnt(0)
	v_lshl_add_u64 v[6:7], s[4:5], 0, v[4:5]
	v_lshl_add_u64 v[8:9], s[6:7], 0, v[4:5]
	global_load_dword v5, v[6:7], off
	global_load_dword v3, v[8:9], off
	v_mov_b32_e32 v8, 0
	s_waitcnt vmcnt(0)
	v_cmp_lt_i32_e32 vcc, v5, v3
	s_and_saveexec_b64 s[14:15], vcc
	s_cbranch_execz .LBB72_15
; %bb.2:
	s_load_dword s26, s[0:1], 0x20
	s_load_dwordx2 s[18:19], s[0:1], 0x18
	s_cmp_lg_u64 s[22:23], 0
	s_mov_b64 s[20:21], 0
	s_cselect_b64 s[16:17], -1, 0
	s_waitcnt lgkmcnt(0)
	v_subrev_u32_e32 v4, s26, v5
	v_subrev_u32_e32 v3, s26, v3
	v_add_u32_e32 v1, 1, v4
	v_max_i32_e32 v1, v1, v3
	v_add_u32_e32 v1, s26, v1
	v_sub_u32_e32 v5, v1, v5
	v_cmp_lt_u32_e32 vcc, 1, v5
	s_mov_b64 s[4:5], -1
	v_mov_b32_e32 v1, 0
	v_mov_b32_e32 v8, 0
	s_and_saveexec_b64 s[24:25], vcc
	s_cbranch_execz .LBB72_6
; %bb.3:
	v_and_b32_e32 v9, -2, v5
	s_mov_b32 s27, s26
	v_mov_b32_e32 v1, v2
	v_mov_b32_e32 v8, 0
	;; [unrolled: 1-line block ×7, first 2 shown]
.LBB72_4:                               ; =>This Inner Loop Header: Depth=1
	v_ashrrev_i32_e32 v7, 31, v6
	v_lshl_add_u64 v[14:15], v[6:7], 2, s[18:19]
	global_load_dwordx2 v[14:15], v[14:15], off
	v_add_u32_e32 v13, -2, v13
	v_cmp_eq_u32_e32 vcc, 0, v13
	v_add_u32_e32 v6, 2, v6
	s_waitcnt vmcnt(0)
	v_subrev_u32_e32 v14, s26, v14
	v_subrev_u32_e32 v7, s27, v15
	v_cmp_eq_u32_e64 s[8:9], v14, v2
	v_cmp_le_i32_e64 s[2:3], v14, v2
	v_cmp_eq_u32_e64 s[6:7], v7, v1
	s_and_b64 s[8:9], s[16:17], s[8:9]
	v_cmp_le_i32_e64 s[4:5], v7, v1
	v_cmp_gt_i32_e64 s[10:11], v7, v1
	s_and_b64 s[6:7], s[16:17], s[6:7]
	s_and_b64 s[2:3], s[2:3], s[8:9]
	v_addc_co_u32_e64 v10, s[10:11], 0, v10, s[10:11]
	v_cndmask_b32_e64 v7, 0, 1, s[2:3]
	s_and_b64 s[2:3], s[4:5], s[6:7]
	v_cmp_gt_i32_e64 s[10:11], v14, v2
	v_cndmask_b32_e64 v14, 0, 1, s[2:3]
	v_add_u32_e32 v12, v12, v14
	v_addc_co_u32_e64 v8, s[10:11], 0, v8, s[10:11]
	v_add_u32_e32 v11, v11, v7
	s_or_b64 s[20:21], vcc, s[20:21]
	s_andn2_b64 exec, exec, s[20:21]
	s_cbranch_execnz .LBB72_4
; %bb.5:
	s_or_b64 exec, exec, s[20:21]
	v_cmp_ne_u32_e32 vcc, v5, v9
	v_add_u32_e32 v4, v4, v9
	v_add_u32_e32 v8, v8, v10
	;; [unrolled: 1-line block ×3, first 2 shown]
	s_orn2_b64 s[4:5], vcc, exec
.LBB72_6:
	s_or_b64 exec, exec, s[24:25]
	s_and_saveexec_b64 s[2:3], s[4:5]
	s_cbranch_execz .LBB72_14
; %bb.7:
	v_ashrrev_i32_e32 v5, 31, v4
	v_lshl_add_u64 v[6:7], v[4:5], 2, s[18:19]
	s_mov_b64 s[4:5], 0
	s_branch .LBB72_9
.LBB72_8:                               ;   in Loop: Header=BB72_9 Depth=1
	s_or_b64 exec, exec, s[6:7]
	v_add_u32_e32 v4, 1, v4
	v_cmp_ge_i32_e32 vcc, v4, v3
	s_or_b64 s[4:5], vcc, s[4:5]
	v_lshl_add_u64 v[6:7], v[6:7], 0, 4
	s_andn2_b64 exec, exec, s[4:5]
	s_cbranch_execz .LBB72_13
.LBB72_9:                               ; =>This Inner Loop Header: Depth=1
	global_load_dword v5, v[6:7], off
	s_waitcnt vmcnt(0)
	v_subrev_u32_e32 v5, s26, v5
	v_cmp_le_i32_e32 vcc, v5, v2
	s_and_saveexec_b64 s[6:7], vcc
	s_xor_b64 s[6:7], exec, s[6:7]
; %bb.10:                               ;   in Loop: Header=BB72_9 Depth=1
	v_cmp_eq_u32_e32 vcc, v5, v2
	s_and_b64 s[8:9], s[16:17], vcc
	v_cndmask_b32_e64 v5, 0, 1, s[8:9]
	v_add_u32_e32 v1, v1, v5
; %bb.11:                               ;   in Loop: Header=BB72_9 Depth=1
	s_andn2_saveexec_b64 s[6:7], s[6:7]
	s_cbranch_execz .LBB72_8
; %bb.12:                               ;   in Loop: Header=BB72_9 Depth=1
	v_add_u32_e32 v8, 1, v8
	s_branch .LBB72_8
.LBB72_13:
	s_or_b64 exec, exec, s[4:5]
.LBB72_14:
	s_or_b64 exec, exec, s[2:3]
.LBB72_15:
	s_or_b64 exec, exec, s[14:15]
.LBB72_16:
	s_or_b64 exec, exec, s[12:13]
	s_movk_i32 s2, 0x200
	v_lshlrev_b32_e32 v2, 2, v0
	v_cmp_gt_u32_e64 s[2:3], s2, v0
	ds_write_b32 v2, v8
	s_waitcnt lgkmcnt(0)
	s_barrier
	s_and_saveexec_b64 s[4:5], s[2:3]
	s_cbranch_execz .LBB72_18
; %bb.17:
	ds_read2st64_b32 v[4:5], v2 offset1:8
	s_waitcnt lgkmcnt(0)
	v_add_u32_e32 v3, v5, v4
	ds_write_b32 v2, v3
.LBB72_18:
	s_or_b64 exec, exec, s[4:5]
	s_movk_i32 s4, 0x100
	v_cmp_gt_u32_e64 s[4:5], s4, v0
	s_waitcnt lgkmcnt(0)
	s_barrier
	s_and_saveexec_b64 s[6:7], s[4:5]
	s_cbranch_execz .LBB72_20
; %bb.19:
	ds_read2st64_b32 v[4:5], v2 offset1:4
	s_waitcnt lgkmcnt(0)
	v_add_u32_e32 v3, v5, v4
	ds_write_b32 v2, v3
.LBB72_20:
	s_or_b64 exec, exec, s[6:7]
	s_movk_i32 s6, 0x80
	v_cmp_gt_u32_e64 s[6:7], s6, v0
	s_waitcnt lgkmcnt(0)
	s_barrier
	s_and_saveexec_b64 s[8:9], s[6:7]
	s_cbranch_execz .LBB72_22
; %bb.21:
	ds_read2st64_b32 v[4:5], v2 offset1:2
	s_waitcnt lgkmcnt(0)
	v_add_u32_e32 v3, v5, v4
	ds_write_b32 v2, v3
.LBB72_22:
	s_or_b64 exec, exec, s[8:9]
	v_cmp_gt_u32_e64 s[8:9], 64, v0
	s_waitcnt lgkmcnt(0)
	s_barrier
	s_and_saveexec_b64 s[10:11], s[8:9]
	s_cbranch_execz .LBB72_24
; %bb.23:
	ds_read2st64_b32 v[4:5], v2 offset1:1
	s_waitcnt lgkmcnt(0)
	v_add_u32_e32 v3, v5, v4
	ds_write_b32 v2, v3
.LBB72_24:
	s_or_b64 exec, exec, s[10:11]
	v_cmp_gt_u32_e64 s[10:11], 32, v0
	s_waitcnt lgkmcnt(0)
	s_barrier
	s_and_saveexec_b64 s[12:13], s[10:11]
	s_cbranch_execz .LBB72_26
; %bb.25:
	ds_read2_b32 v[4:5], v2 offset1:32
	s_waitcnt lgkmcnt(0)
	v_add_u32_e32 v3, v5, v4
	ds_write_b32 v2, v3
.LBB72_26:
	s_or_b64 exec, exec, s[12:13]
	v_cmp_gt_u32_e64 s[12:13], 16, v0
	s_waitcnt lgkmcnt(0)
	s_barrier
	s_and_saveexec_b64 s[14:15], s[12:13]
	s_cbranch_execz .LBB72_28
; %bb.27:
	ds_read2_b32 v[4:5], v2 offset1:16
	s_waitcnt lgkmcnt(0)
	v_add_u32_e32 v3, v5, v4
	ds_write_b32 v2, v3
.LBB72_28:
	;; [unrolled: 12-line block ×5, first 2 shown]
	s_or_b64 exec, exec, s[20:21]
	v_cmp_eq_u32_e32 vcc, 0, v0
	s_waitcnt lgkmcnt(0)
	s_barrier
	s_and_saveexec_b64 s[20:21], vcc
	s_cbranch_execz .LBB72_36
; %bb.35:
	v_mov_b32_e32 v0, 0
	ds_read_b64 v[4:5], v0
	s_waitcnt lgkmcnt(0)
	v_add_u32_e32 v3, v5, v4
	ds_write_b32 v0, v3
.LBB72_36:
	s_or_b64 exec, exec, s[20:21]
	s_waitcnt lgkmcnt(0)
	s_barrier
	s_and_saveexec_b64 s[24:25], vcc
	s_cbranch_execz .LBB72_39
; %bb.37:
	s_mov_b64 s[26:27], exec
	v_mbcnt_lo_u32_b32 v0, s26, 0
	v_mbcnt_hi_u32_b32 v0, s27, v0
	v_cmp_eq_u32_e64 s[20:21], 0, v0
	s_and_b64 s[20:21], exec, s[20:21]
	s_mov_b64 exec, s[20:21]
	s_cbranch_execz .LBB72_39
; %bb.38:
	v_mov_b32_e32 v0, 0
	ds_read_b32 v3, v0
	s_load_dwordx2 s[0:1], s[0:1], 0x28
	s_bcnt1_i32_b64 s20, s[26:27]
	s_waitcnt lgkmcnt(0)
	v_mul_lo_u32 v3, v3, s20
	global_atomic_add v0, v3, s[0:1]
.LBB72_39:
	s_or_b64 exec, exec, s[24:25]
	s_cmp_eq_u64 s[22:23], 0
	s_cbranch_scc1 .LBB72_63
; %bb.40:
	ds_write_b32 v2, v1
	s_waitcnt lgkmcnt(0)
	s_barrier
	s_and_saveexec_b64 s[0:1], s[2:3]
	s_cbranch_execz .LBB72_42
; %bb.41:
	ds_read2st64_b32 v[0:1], v2 offset1:8
	s_waitcnt lgkmcnt(0)
	v_add_u32_e32 v0, v1, v0
	ds_write_b32 v2, v0
.LBB72_42:
	s_or_b64 exec, exec, s[0:1]
	s_waitcnt lgkmcnt(0)
	s_barrier
	s_and_saveexec_b64 s[0:1], s[4:5]
	s_cbranch_execz .LBB72_44
; %bb.43:
	ds_read2st64_b32 v[0:1], v2 offset1:4
	s_waitcnt lgkmcnt(0)
	v_add_u32_e32 v0, v1, v0
	ds_write_b32 v2, v0
.LBB72_44:
	s_or_b64 exec, exec, s[0:1]
	s_waitcnt lgkmcnt(0)
	s_barrier
	s_and_saveexec_b64 s[0:1], s[6:7]
	s_cbranch_execz .LBB72_46
; %bb.45:
	ds_read2st64_b32 v[0:1], v2 offset1:2
	s_waitcnt lgkmcnt(0)
	v_add_u32_e32 v0, v1, v0
	ds_write_b32 v2, v0
.LBB72_46:
	s_or_b64 exec, exec, s[0:1]
	s_waitcnt lgkmcnt(0)
	s_barrier
	s_and_saveexec_b64 s[0:1], s[8:9]
	s_cbranch_execz .LBB72_48
; %bb.47:
	ds_read2st64_b32 v[0:1], v2 offset1:1
	s_waitcnt lgkmcnt(0)
	v_add_u32_e32 v0, v1, v0
	ds_write_b32 v2, v0
.LBB72_48:
	s_or_b64 exec, exec, s[0:1]
	s_waitcnt lgkmcnt(0)
	s_barrier
	s_and_saveexec_b64 s[0:1], s[10:11]
	s_cbranch_execz .LBB72_50
; %bb.49:
	ds_read2_b32 v[0:1], v2 offset1:32
	s_waitcnt lgkmcnt(0)
	v_add_u32_e32 v0, v1, v0
	ds_write_b32 v2, v0
.LBB72_50:
	s_or_b64 exec, exec, s[0:1]
	s_waitcnt lgkmcnt(0)
	s_barrier
	s_and_saveexec_b64 s[0:1], s[12:13]
	s_cbranch_execz .LBB72_52
; %bb.51:
	ds_read2_b32 v[0:1], v2 offset1:16
	s_waitcnt lgkmcnt(0)
	v_add_u32_e32 v0, v1, v0
	ds_write_b32 v2, v0
.LBB72_52:
	s_or_b64 exec, exec, s[0:1]
	;; [unrolled: 11-line block ×5, first 2 shown]
	s_waitcnt lgkmcnt(0)
	s_barrier
	s_and_saveexec_b64 s[0:1], vcc
	s_cbranch_execz .LBB72_60
; %bb.59:
	v_mov_b32_e32 v2, 0
	ds_read_b64 v[0:1], v2
	s_waitcnt lgkmcnt(0)
	v_add_u32_e32 v0, v1, v0
	ds_write_b32 v2, v0
.LBB72_60:
	s_or_b64 exec, exec, s[0:1]
	s_waitcnt lgkmcnt(0)
	s_barrier
	s_and_saveexec_b64 s[0:1], vcc
	s_cbranch_execz .LBB72_63
; %bb.61:
	s_mov_b64 s[0:1], exec
	v_mbcnt_lo_u32_b32 v0, s0, 0
	v_mbcnt_hi_u32_b32 v0, s1, v0
	v_cmp_eq_u32_e32 vcc, 0, v0
	s_and_b64 s[2:3], exec, vcc
	s_mov_b64 exec, s[2:3]
	s_cbranch_execz .LBB72_63
; %bb.62:
	v_mov_b32_e32 v0, 0
	ds_read_b32 v1, v0
	s_bcnt1_i32_b64 s0, s[0:1]
	s_waitcnt lgkmcnt(0)
	v_mul_lo_u32 v1, v1, s0
	global_atomic_add v0, v1, s[22:23]
.LBB72_63:
	s_endpgm
	.section	.rodata,"a",@progbits
	.p2align	6, 0x0
	.amdhsa_kernel _ZN9rocsparseL19kernel_compute_unnzILj1024ELj32EiiEEvT2_PKT1_S4_PKS1_21rocsparse_index_base_PS2_S8_
		.amdhsa_group_segment_fixed_size 4096
		.amdhsa_private_segment_fixed_size 0
		.amdhsa_kernarg_size 312
		.amdhsa_user_sgpr_count 2
		.amdhsa_user_sgpr_dispatch_ptr 0
		.amdhsa_user_sgpr_queue_ptr 0
		.amdhsa_user_sgpr_kernarg_segment_ptr 1
		.amdhsa_user_sgpr_dispatch_id 0
		.amdhsa_user_sgpr_kernarg_preload_length 0
		.amdhsa_user_sgpr_kernarg_preload_offset 0
		.amdhsa_user_sgpr_private_segment_size 0
		.amdhsa_uses_dynamic_stack 0
		.amdhsa_enable_private_segment 0
		.amdhsa_system_sgpr_workgroup_id_x 1
		.amdhsa_system_sgpr_workgroup_id_y 0
		.amdhsa_system_sgpr_workgroup_id_z 0
		.amdhsa_system_sgpr_workgroup_info 0
		.amdhsa_system_vgpr_workitem_id 0
		.amdhsa_next_free_vgpr 16
		.amdhsa_next_free_sgpr 28
		.amdhsa_accum_offset 16
		.amdhsa_reserve_vcc 1
		.amdhsa_float_round_mode_32 0
		.amdhsa_float_round_mode_16_64 0
		.amdhsa_float_denorm_mode_32 3
		.amdhsa_float_denorm_mode_16_64 3
		.amdhsa_dx10_clamp 1
		.amdhsa_ieee_mode 1
		.amdhsa_fp16_overflow 0
		.amdhsa_tg_split 0
		.amdhsa_exception_fp_ieee_invalid_op 0
		.amdhsa_exception_fp_denorm_src 0
		.amdhsa_exception_fp_ieee_div_zero 0
		.amdhsa_exception_fp_ieee_overflow 0
		.amdhsa_exception_fp_ieee_underflow 0
		.amdhsa_exception_fp_ieee_inexact 0
		.amdhsa_exception_int_div_zero 0
	.end_amdhsa_kernel
	.section	.text._ZN9rocsparseL19kernel_compute_unnzILj1024ELj32EiiEEvT2_PKT1_S4_PKS1_21rocsparse_index_base_PS2_S8_,"axG",@progbits,_ZN9rocsparseL19kernel_compute_unnzILj1024ELj32EiiEEvT2_PKT1_S4_PKS1_21rocsparse_index_base_PS2_S8_,comdat
.Lfunc_end72:
	.size	_ZN9rocsparseL19kernel_compute_unnzILj1024ELj32EiiEEvT2_PKT1_S4_PKS1_21rocsparse_index_base_PS2_S8_, .Lfunc_end72-_ZN9rocsparseL19kernel_compute_unnzILj1024ELj32EiiEEvT2_PKT1_S4_PKS1_21rocsparse_index_base_PS2_S8_
                                        ; -- End function
	.set _ZN9rocsparseL19kernel_compute_unnzILj1024ELj32EiiEEvT2_PKT1_S4_PKS1_21rocsparse_index_base_PS2_S8_.num_vgpr, 16
	.set _ZN9rocsparseL19kernel_compute_unnzILj1024ELj32EiiEEvT2_PKT1_S4_PKS1_21rocsparse_index_base_PS2_S8_.num_agpr, 0
	.set _ZN9rocsparseL19kernel_compute_unnzILj1024ELj32EiiEEvT2_PKT1_S4_PKS1_21rocsparse_index_base_PS2_S8_.numbered_sgpr, 28
	.set _ZN9rocsparseL19kernel_compute_unnzILj1024ELj32EiiEEvT2_PKT1_S4_PKS1_21rocsparse_index_base_PS2_S8_.num_named_barrier, 0
	.set _ZN9rocsparseL19kernel_compute_unnzILj1024ELj32EiiEEvT2_PKT1_S4_PKS1_21rocsparse_index_base_PS2_S8_.private_seg_size, 0
	.set _ZN9rocsparseL19kernel_compute_unnzILj1024ELj32EiiEEvT2_PKT1_S4_PKS1_21rocsparse_index_base_PS2_S8_.uses_vcc, 1
	.set _ZN9rocsparseL19kernel_compute_unnzILj1024ELj32EiiEEvT2_PKT1_S4_PKS1_21rocsparse_index_base_PS2_S8_.uses_flat_scratch, 0
	.set _ZN9rocsparseL19kernel_compute_unnzILj1024ELj32EiiEEvT2_PKT1_S4_PKS1_21rocsparse_index_base_PS2_S8_.has_dyn_sized_stack, 0
	.set _ZN9rocsparseL19kernel_compute_unnzILj1024ELj32EiiEEvT2_PKT1_S4_PKS1_21rocsparse_index_base_PS2_S8_.has_recursion, 0
	.set _ZN9rocsparseL19kernel_compute_unnzILj1024ELj32EiiEEvT2_PKT1_S4_PKS1_21rocsparse_index_base_PS2_S8_.has_indirect_call, 0
	.section	.AMDGPU.csdata,"",@progbits
; Kernel info:
; codeLenInByte = 1788
; TotalNumSgprs: 34
; NumVgprs: 16
; NumAgprs: 0
; TotalNumVgprs: 16
; ScratchSize: 0
; MemoryBound: 0
; FloatMode: 240
; IeeeMode: 1
; LDSByteSize: 4096 bytes/workgroup (compile time only)
; SGPRBlocks: 4
; VGPRBlocks: 1
; NumSGPRsForWavesPerEU: 34
; NumVGPRsForWavesPerEU: 16
; AccumOffset: 16
; Occupancy: 8
; WaveLimiterHint : 0
; COMPUTE_PGM_RSRC2:SCRATCH_EN: 0
; COMPUTE_PGM_RSRC2:USER_SGPR: 2
; COMPUTE_PGM_RSRC2:TRAP_HANDLER: 0
; COMPUTE_PGM_RSRC2:TGID_X_EN: 1
; COMPUTE_PGM_RSRC2:TGID_Y_EN: 0
; COMPUTE_PGM_RSRC2:TGID_Z_EN: 0
; COMPUTE_PGM_RSRC2:TIDIG_COMP_CNT: 0
; COMPUTE_PGM_RSRC3_GFX90A:ACCUM_OFFSET: 3
; COMPUTE_PGM_RSRC3_GFX90A:TG_SPLIT: 0
	.section	.text._ZN9rocsparseL19kernel_compute_unnzILj1024ELj64EiiEEvT2_PKT1_S4_PKS1_21rocsparse_index_base_PS2_S8_,"axG",@progbits,_ZN9rocsparseL19kernel_compute_unnzILj1024ELj64EiiEEvT2_PKT1_S4_PKS1_21rocsparse_index_base_PS2_S8_,comdat
	.globl	_ZN9rocsparseL19kernel_compute_unnzILj1024ELj64EiiEEvT2_PKT1_S4_PKS1_21rocsparse_index_base_PS2_S8_ ; -- Begin function _ZN9rocsparseL19kernel_compute_unnzILj1024ELj64EiiEEvT2_PKT1_S4_PKS1_21rocsparse_index_base_PS2_S8_
	.p2align	8
	.type	_ZN9rocsparseL19kernel_compute_unnzILj1024ELj64EiiEEvT2_PKT1_S4_PKS1_21rocsparse_index_base_PS2_S8_,@function
_ZN9rocsparseL19kernel_compute_unnzILj1024ELj64EiiEEvT2_PKT1_S4_PKS1_21rocsparse_index_base_PS2_S8_: ; @_ZN9rocsparseL19kernel_compute_unnzILj1024ELj64EiiEEvT2_PKT1_S4_PKS1_21rocsparse_index_base_PS2_S8_
; %bb.0:
	s_load_dword s3, s[0:1], 0x44
	s_load_dword s4, s[0:1], 0x0
	s_load_dwordx2 s[22:23], s[0:1], 0x30
	v_mov_b32_e32 v1, 0
	v_mov_b32_e32 v8, 0
	s_waitcnt lgkmcnt(0)
	s_and_b32 s3, s3, 0xffff
	s_mul_i32 s2, s2, s3
	v_add_u32_e32 v2, s2, v0
	v_cmp_gt_i32_e32 vcc, s4, v2
	s_and_saveexec_b64 s[12:13], vcc
	s_cbranch_execz .LBB73_16
; %bb.1:
	s_load_dwordx4 s[4:7], s[0:1], 0x8
	v_ashrrev_i32_e32 v3, 31, v2
	v_lshlrev_b64 v[4:5], 2, v[2:3]
	v_mov_b32_e32 v1, 0
	s_waitcnt lgkmcnt(0)
	v_lshl_add_u64 v[6:7], s[4:5], 0, v[4:5]
	v_lshl_add_u64 v[8:9], s[6:7], 0, v[4:5]
	global_load_dword v5, v[6:7], off
	global_load_dword v3, v[8:9], off
	v_mov_b32_e32 v8, 0
	s_waitcnt vmcnt(0)
	v_cmp_lt_i32_e32 vcc, v5, v3
	s_and_saveexec_b64 s[14:15], vcc
	s_cbranch_execz .LBB73_15
; %bb.2:
	s_load_dword s26, s[0:1], 0x20
	s_load_dwordx2 s[18:19], s[0:1], 0x18
	s_cmp_lg_u64 s[22:23], 0
	s_mov_b64 s[20:21], 0
	s_cselect_b64 s[16:17], -1, 0
	s_waitcnt lgkmcnt(0)
	v_subrev_u32_e32 v4, s26, v5
	v_subrev_u32_e32 v3, s26, v3
	v_add_u32_e32 v1, 1, v4
	v_max_i32_e32 v1, v1, v3
	v_add_u32_e32 v1, s26, v1
	v_sub_u32_e32 v5, v1, v5
	v_cmp_lt_u32_e32 vcc, 1, v5
	s_mov_b64 s[4:5], -1
	v_mov_b32_e32 v1, 0
	v_mov_b32_e32 v8, 0
	s_and_saveexec_b64 s[24:25], vcc
	s_cbranch_execz .LBB73_6
; %bb.3:
	v_and_b32_e32 v9, -2, v5
	s_mov_b32 s27, s26
	v_mov_b32_e32 v1, v2
	v_mov_b32_e32 v8, 0
	v_mov_b32_e32 v6, v4
	v_mov_b32_e32 v13, v9
	v_mov_b32_e32 v10, 0
	v_mov_b32_e32 v11, 0
	v_mov_b32_e32 v12, 0
.LBB73_4:                               ; =>This Inner Loop Header: Depth=1
	v_ashrrev_i32_e32 v7, 31, v6
	v_lshl_add_u64 v[14:15], v[6:7], 2, s[18:19]
	global_load_dwordx2 v[14:15], v[14:15], off
	v_add_u32_e32 v13, -2, v13
	v_cmp_eq_u32_e32 vcc, 0, v13
	v_add_u32_e32 v6, 2, v6
	s_waitcnt vmcnt(0)
	v_subrev_u32_e32 v14, s26, v14
	v_subrev_u32_e32 v7, s27, v15
	v_cmp_eq_u32_e64 s[8:9], v14, v2
	v_cmp_le_i32_e64 s[2:3], v14, v2
	v_cmp_eq_u32_e64 s[6:7], v7, v1
	s_and_b64 s[8:9], s[16:17], s[8:9]
	v_cmp_le_i32_e64 s[4:5], v7, v1
	v_cmp_gt_i32_e64 s[10:11], v7, v1
	s_and_b64 s[6:7], s[16:17], s[6:7]
	s_and_b64 s[2:3], s[2:3], s[8:9]
	v_addc_co_u32_e64 v10, s[10:11], 0, v10, s[10:11]
	v_cndmask_b32_e64 v7, 0, 1, s[2:3]
	s_and_b64 s[2:3], s[4:5], s[6:7]
	v_cmp_gt_i32_e64 s[10:11], v14, v2
	v_cndmask_b32_e64 v14, 0, 1, s[2:3]
	v_add_u32_e32 v12, v12, v14
	v_addc_co_u32_e64 v8, s[10:11], 0, v8, s[10:11]
	v_add_u32_e32 v11, v11, v7
	s_or_b64 s[20:21], vcc, s[20:21]
	s_andn2_b64 exec, exec, s[20:21]
	s_cbranch_execnz .LBB73_4
; %bb.5:
	s_or_b64 exec, exec, s[20:21]
	v_cmp_ne_u32_e32 vcc, v5, v9
	v_add_u32_e32 v4, v4, v9
	v_add_u32_e32 v8, v8, v10
	;; [unrolled: 1-line block ×3, first 2 shown]
	s_orn2_b64 s[4:5], vcc, exec
.LBB73_6:
	s_or_b64 exec, exec, s[24:25]
	s_and_saveexec_b64 s[2:3], s[4:5]
	s_cbranch_execz .LBB73_14
; %bb.7:
	v_ashrrev_i32_e32 v5, 31, v4
	v_lshl_add_u64 v[6:7], v[4:5], 2, s[18:19]
	s_mov_b64 s[4:5], 0
	s_branch .LBB73_9
.LBB73_8:                               ;   in Loop: Header=BB73_9 Depth=1
	s_or_b64 exec, exec, s[6:7]
	v_add_u32_e32 v4, 1, v4
	v_cmp_ge_i32_e32 vcc, v4, v3
	s_or_b64 s[4:5], vcc, s[4:5]
	v_lshl_add_u64 v[6:7], v[6:7], 0, 4
	s_andn2_b64 exec, exec, s[4:5]
	s_cbranch_execz .LBB73_13
.LBB73_9:                               ; =>This Inner Loop Header: Depth=1
	global_load_dword v5, v[6:7], off
	s_waitcnt vmcnt(0)
	v_subrev_u32_e32 v5, s26, v5
	v_cmp_le_i32_e32 vcc, v5, v2
	s_and_saveexec_b64 s[6:7], vcc
	s_xor_b64 s[6:7], exec, s[6:7]
; %bb.10:                               ;   in Loop: Header=BB73_9 Depth=1
	v_cmp_eq_u32_e32 vcc, v5, v2
	s_and_b64 s[8:9], s[16:17], vcc
	v_cndmask_b32_e64 v5, 0, 1, s[8:9]
	v_add_u32_e32 v1, v1, v5
; %bb.11:                               ;   in Loop: Header=BB73_9 Depth=1
	s_andn2_saveexec_b64 s[6:7], s[6:7]
	s_cbranch_execz .LBB73_8
; %bb.12:                               ;   in Loop: Header=BB73_9 Depth=1
	v_add_u32_e32 v8, 1, v8
	s_branch .LBB73_8
.LBB73_13:
	s_or_b64 exec, exec, s[4:5]
.LBB73_14:
	s_or_b64 exec, exec, s[2:3]
.LBB73_15:
	s_or_b64 exec, exec, s[14:15]
.LBB73_16:
	s_or_b64 exec, exec, s[12:13]
	s_movk_i32 s2, 0x200
	v_lshlrev_b32_e32 v2, 2, v0
	v_cmp_gt_u32_e64 s[2:3], s2, v0
	ds_write_b32 v2, v8
	s_waitcnt lgkmcnt(0)
	s_barrier
	s_and_saveexec_b64 s[4:5], s[2:3]
	s_cbranch_execz .LBB73_18
; %bb.17:
	ds_read2st64_b32 v[4:5], v2 offset1:8
	s_waitcnt lgkmcnt(0)
	v_add_u32_e32 v3, v5, v4
	ds_write_b32 v2, v3
.LBB73_18:
	s_or_b64 exec, exec, s[4:5]
	s_movk_i32 s4, 0x100
	v_cmp_gt_u32_e64 s[4:5], s4, v0
	s_waitcnt lgkmcnt(0)
	s_barrier
	s_and_saveexec_b64 s[6:7], s[4:5]
	s_cbranch_execz .LBB73_20
; %bb.19:
	ds_read2st64_b32 v[4:5], v2 offset1:4
	s_waitcnt lgkmcnt(0)
	v_add_u32_e32 v3, v5, v4
	ds_write_b32 v2, v3
.LBB73_20:
	s_or_b64 exec, exec, s[6:7]
	s_movk_i32 s6, 0x80
	v_cmp_gt_u32_e64 s[6:7], s6, v0
	s_waitcnt lgkmcnt(0)
	s_barrier
	s_and_saveexec_b64 s[8:9], s[6:7]
	s_cbranch_execz .LBB73_22
; %bb.21:
	ds_read2st64_b32 v[4:5], v2 offset1:2
	s_waitcnt lgkmcnt(0)
	v_add_u32_e32 v3, v5, v4
	ds_write_b32 v2, v3
.LBB73_22:
	s_or_b64 exec, exec, s[8:9]
	v_cmp_gt_u32_e64 s[8:9], 64, v0
	s_waitcnt lgkmcnt(0)
	s_barrier
	s_and_saveexec_b64 s[10:11], s[8:9]
	s_cbranch_execz .LBB73_24
; %bb.23:
	ds_read2st64_b32 v[4:5], v2 offset1:1
	s_waitcnt lgkmcnt(0)
	v_add_u32_e32 v3, v5, v4
	ds_write_b32 v2, v3
.LBB73_24:
	s_or_b64 exec, exec, s[10:11]
	v_cmp_gt_u32_e64 s[10:11], 32, v0
	s_waitcnt lgkmcnt(0)
	s_barrier
	s_and_saveexec_b64 s[12:13], s[10:11]
	s_cbranch_execz .LBB73_26
; %bb.25:
	ds_read2_b32 v[4:5], v2 offset1:32
	s_waitcnt lgkmcnt(0)
	v_add_u32_e32 v3, v5, v4
	ds_write_b32 v2, v3
.LBB73_26:
	s_or_b64 exec, exec, s[12:13]
	v_cmp_gt_u32_e64 s[12:13], 16, v0
	s_waitcnt lgkmcnt(0)
	s_barrier
	s_and_saveexec_b64 s[14:15], s[12:13]
	s_cbranch_execz .LBB73_28
; %bb.27:
	ds_read2_b32 v[4:5], v2 offset1:16
	s_waitcnt lgkmcnt(0)
	v_add_u32_e32 v3, v5, v4
	ds_write_b32 v2, v3
.LBB73_28:
	;; [unrolled: 12-line block ×5, first 2 shown]
	s_or_b64 exec, exec, s[20:21]
	v_cmp_eq_u32_e32 vcc, 0, v0
	s_waitcnt lgkmcnt(0)
	s_barrier
	s_and_saveexec_b64 s[20:21], vcc
	s_cbranch_execz .LBB73_36
; %bb.35:
	v_mov_b32_e32 v0, 0
	ds_read_b64 v[4:5], v0
	s_waitcnt lgkmcnt(0)
	v_add_u32_e32 v3, v5, v4
	ds_write_b32 v0, v3
.LBB73_36:
	s_or_b64 exec, exec, s[20:21]
	s_waitcnt lgkmcnt(0)
	s_barrier
	s_and_saveexec_b64 s[24:25], vcc
	s_cbranch_execz .LBB73_39
; %bb.37:
	s_mov_b64 s[26:27], exec
	v_mbcnt_lo_u32_b32 v0, s26, 0
	v_mbcnt_hi_u32_b32 v0, s27, v0
	v_cmp_eq_u32_e64 s[20:21], 0, v0
	s_and_b64 s[20:21], exec, s[20:21]
	s_mov_b64 exec, s[20:21]
	s_cbranch_execz .LBB73_39
; %bb.38:
	v_mov_b32_e32 v0, 0
	ds_read_b32 v3, v0
	s_load_dwordx2 s[0:1], s[0:1], 0x28
	s_bcnt1_i32_b64 s20, s[26:27]
	s_waitcnt lgkmcnt(0)
	v_mul_lo_u32 v3, v3, s20
	global_atomic_add v0, v3, s[0:1]
.LBB73_39:
	s_or_b64 exec, exec, s[24:25]
	s_cmp_eq_u64 s[22:23], 0
	s_cbranch_scc1 .LBB73_63
; %bb.40:
	ds_write_b32 v2, v1
	s_waitcnt lgkmcnt(0)
	s_barrier
	s_and_saveexec_b64 s[0:1], s[2:3]
	s_cbranch_execz .LBB73_42
; %bb.41:
	ds_read2st64_b32 v[0:1], v2 offset1:8
	s_waitcnt lgkmcnt(0)
	v_add_u32_e32 v0, v1, v0
	ds_write_b32 v2, v0
.LBB73_42:
	s_or_b64 exec, exec, s[0:1]
	s_waitcnt lgkmcnt(0)
	s_barrier
	s_and_saveexec_b64 s[0:1], s[4:5]
	s_cbranch_execz .LBB73_44
; %bb.43:
	ds_read2st64_b32 v[0:1], v2 offset1:4
	s_waitcnt lgkmcnt(0)
	v_add_u32_e32 v0, v1, v0
	ds_write_b32 v2, v0
.LBB73_44:
	s_or_b64 exec, exec, s[0:1]
	;; [unrolled: 11-line block ×4, first 2 shown]
	s_waitcnt lgkmcnt(0)
	s_barrier
	s_and_saveexec_b64 s[0:1], s[10:11]
	s_cbranch_execz .LBB73_50
; %bb.49:
	ds_read2_b32 v[0:1], v2 offset1:32
	s_waitcnt lgkmcnt(0)
	v_add_u32_e32 v0, v1, v0
	ds_write_b32 v2, v0
.LBB73_50:
	s_or_b64 exec, exec, s[0:1]
	s_waitcnt lgkmcnt(0)
	s_barrier
	s_and_saveexec_b64 s[0:1], s[12:13]
	s_cbranch_execz .LBB73_52
; %bb.51:
	ds_read2_b32 v[0:1], v2 offset1:16
	s_waitcnt lgkmcnt(0)
	v_add_u32_e32 v0, v1, v0
	ds_write_b32 v2, v0
.LBB73_52:
	s_or_b64 exec, exec, s[0:1]
	;; [unrolled: 11-line block ×5, first 2 shown]
	s_waitcnt lgkmcnt(0)
	s_barrier
	s_and_saveexec_b64 s[0:1], vcc
	s_cbranch_execz .LBB73_60
; %bb.59:
	v_mov_b32_e32 v2, 0
	ds_read_b64 v[0:1], v2
	s_waitcnt lgkmcnt(0)
	v_add_u32_e32 v0, v1, v0
	ds_write_b32 v2, v0
.LBB73_60:
	s_or_b64 exec, exec, s[0:1]
	s_waitcnt lgkmcnt(0)
	s_barrier
	s_and_saveexec_b64 s[0:1], vcc
	s_cbranch_execz .LBB73_63
; %bb.61:
	s_mov_b64 s[0:1], exec
	v_mbcnt_lo_u32_b32 v0, s0, 0
	v_mbcnt_hi_u32_b32 v0, s1, v0
	v_cmp_eq_u32_e32 vcc, 0, v0
	s_and_b64 s[2:3], exec, vcc
	s_mov_b64 exec, s[2:3]
	s_cbranch_execz .LBB73_63
; %bb.62:
	v_mov_b32_e32 v0, 0
	ds_read_b32 v1, v0
	s_bcnt1_i32_b64 s0, s[0:1]
	s_waitcnt lgkmcnt(0)
	v_mul_lo_u32 v1, v1, s0
	global_atomic_add v0, v1, s[22:23]
.LBB73_63:
	s_endpgm
	.section	.rodata,"a",@progbits
	.p2align	6, 0x0
	.amdhsa_kernel _ZN9rocsparseL19kernel_compute_unnzILj1024ELj64EiiEEvT2_PKT1_S4_PKS1_21rocsparse_index_base_PS2_S8_
		.amdhsa_group_segment_fixed_size 4096
		.amdhsa_private_segment_fixed_size 0
		.amdhsa_kernarg_size 312
		.amdhsa_user_sgpr_count 2
		.amdhsa_user_sgpr_dispatch_ptr 0
		.amdhsa_user_sgpr_queue_ptr 0
		.amdhsa_user_sgpr_kernarg_segment_ptr 1
		.amdhsa_user_sgpr_dispatch_id 0
		.amdhsa_user_sgpr_kernarg_preload_length 0
		.amdhsa_user_sgpr_kernarg_preload_offset 0
		.amdhsa_user_sgpr_private_segment_size 0
		.amdhsa_uses_dynamic_stack 0
		.amdhsa_enable_private_segment 0
		.amdhsa_system_sgpr_workgroup_id_x 1
		.amdhsa_system_sgpr_workgroup_id_y 0
		.amdhsa_system_sgpr_workgroup_id_z 0
		.amdhsa_system_sgpr_workgroup_info 0
		.amdhsa_system_vgpr_workitem_id 0
		.amdhsa_next_free_vgpr 16
		.amdhsa_next_free_sgpr 28
		.amdhsa_accum_offset 16
		.amdhsa_reserve_vcc 1
		.amdhsa_float_round_mode_32 0
		.amdhsa_float_round_mode_16_64 0
		.amdhsa_float_denorm_mode_32 3
		.amdhsa_float_denorm_mode_16_64 3
		.amdhsa_dx10_clamp 1
		.amdhsa_ieee_mode 1
		.amdhsa_fp16_overflow 0
		.amdhsa_tg_split 0
		.amdhsa_exception_fp_ieee_invalid_op 0
		.amdhsa_exception_fp_denorm_src 0
		.amdhsa_exception_fp_ieee_div_zero 0
		.amdhsa_exception_fp_ieee_overflow 0
		.amdhsa_exception_fp_ieee_underflow 0
		.amdhsa_exception_fp_ieee_inexact 0
		.amdhsa_exception_int_div_zero 0
	.end_amdhsa_kernel
	.section	.text._ZN9rocsparseL19kernel_compute_unnzILj1024ELj64EiiEEvT2_PKT1_S4_PKS1_21rocsparse_index_base_PS2_S8_,"axG",@progbits,_ZN9rocsparseL19kernel_compute_unnzILj1024ELj64EiiEEvT2_PKT1_S4_PKS1_21rocsparse_index_base_PS2_S8_,comdat
.Lfunc_end73:
	.size	_ZN9rocsparseL19kernel_compute_unnzILj1024ELj64EiiEEvT2_PKT1_S4_PKS1_21rocsparse_index_base_PS2_S8_, .Lfunc_end73-_ZN9rocsparseL19kernel_compute_unnzILj1024ELj64EiiEEvT2_PKT1_S4_PKS1_21rocsparse_index_base_PS2_S8_
                                        ; -- End function
	.set _ZN9rocsparseL19kernel_compute_unnzILj1024ELj64EiiEEvT2_PKT1_S4_PKS1_21rocsparse_index_base_PS2_S8_.num_vgpr, 16
	.set _ZN9rocsparseL19kernel_compute_unnzILj1024ELj64EiiEEvT2_PKT1_S4_PKS1_21rocsparse_index_base_PS2_S8_.num_agpr, 0
	.set _ZN9rocsparseL19kernel_compute_unnzILj1024ELj64EiiEEvT2_PKT1_S4_PKS1_21rocsparse_index_base_PS2_S8_.numbered_sgpr, 28
	.set _ZN9rocsparseL19kernel_compute_unnzILj1024ELj64EiiEEvT2_PKT1_S4_PKS1_21rocsparse_index_base_PS2_S8_.num_named_barrier, 0
	.set _ZN9rocsparseL19kernel_compute_unnzILj1024ELj64EiiEEvT2_PKT1_S4_PKS1_21rocsparse_index_base_PS2_S8_.private_seg_size, 0
	.set _ZN9rocsparseL19kernel_compute_unnzILj1024ELj64EiiEEvT2_PKT1_S4_PKS1_21rocsparse_index_base_PS2_S8_.uses_vcc, 1
	.set _ZN9rocsparseL19kernel_compute_unnzILj1024ELj64EiiEEvT2_PKT1_S4_PKS1_21rocsparse_index_base_PS2_S8_.uses_flat_scratch, 0
	.set _ZN9rocsparseL19kernel_compute_unnzILj1024ELj64EiiEEvT2_PKT1_S4_PKS1_21rocsparse_index_base_PS2_S8_.has_dyn_sized_stack, 0
	.set _ZN9rocsparseL19kernel_compute_unnzILj1024ELj64EiiEEvT2_PKT1_S4_PKS1_21rocsparse_index_base_PS2_S8_.has_recursion, 0
	.set _ZN9rocsparseL19kernel_compute_unnzILj1024ELj64EiiEEvT2_PKT1_S4_PKS1_21rocsparse_index_base_PS2_S8_.has_indirect_call, 0
	.section	.AMDGPU.csdata,"",@progbits
; Kernel info:
; codeLenInByte = 1788
; TotalNumSgprs: 34
; NumVgprs: 16
; NumAgprs: 0
; TotalNumVgprs: 16
; ScratchSize: 0
; MemoryBound: 0
; FloatMode: 240
; IeeeMode: 1
; LDSByteSize: 4096 bytes/workgroup (compile time only)
; SGPRBlocks: 4
; VGPRBlocks: 1
; NumSGPRsForWavesPerEU: 34
; NumVGPRsForWavesPerEU: 16
; AccumOffset: 16
; Occupancy: 8
; WaveLimiterHint : 0
; COMPUTE_PGM_RSRC2:SCRATCH_EN: 0
; COMPUTE_PGM_RSRC2:USER_SGPR: 2
; COMPUTE_PGM_RSRC2:TRAP_HANDLER: 0
; COMPUTE_PGM_RSRC2:TGID_X_EN: 1
; COMPUTE_PGM_RSRC2:TGID_Y_EN: 0
; COMPUTE_PGM_RSRC2:TGID_Z_EN: 0
; COMPUTE_PGM_RSRC2:TIDIG_COMP_CNT: 0
; COMPUTE_PGM_RSRC3_GFX90A:ACCUM_OFFSET: 3
; COMPUTE_PGM_RSRC3_GFX90A:TG_SPLIT: 0
	.section	.text._ZN9rocsparseL23kernel_compute_lptr_endILj1024ELj32EiiEEvT2_PKT1_S4_PKS1_21rocsparse_index_base_PS2_,"axG",@progbits,_ZN9rocsparseL23kernel_compute_lptr_endILj1024ELj32EiiEEvT2_PKT1_S4_PKS1_21rocsparse_index_base_PS2_,comdat
	.globl	_ZN9rocsparseL23kernel_compute_lptr_endILj1024ELj32EiiEEvT2_PKT1_S4_PKS1_21rocsparse_index_base_PS2_ ; -- Begin function _ZN9rocsparseL23kernel_compute_lptr_endILj1024ELj32EiiEEvT2_PKT1_S4_PKS1_21rocsparse_index_base_PS2_
	.p2align	8
	.type	_ZN9rocsparseL23kernel_compute_lptr_endILj1024ELj32EiiEEvT2_PKT1_S4_PKS1_21rocsparse_index_base_PS2_,@function
_ZN9rocsparseL23kernel_compute_lptr_endILj1024ELj32EiiEEvT2_PKT1_S4_PKS1_21rocsparse_index_base_PS2_: ; @_ZN9rocsparseL23kernel_compute_lptr_endILj1024ELj32EiiEEvT2_PKT1_S4_PKS1_21rocsparse_index_base_PS2_
; %bb.0:
	s_load_dword s3, s[0:1], 0x3c
	s_load_dword s4, s[0:1], 0x0
	s_waitcnt lgkmcnt(0)
	s_and_b32 s3, s3, 0xffff
	s_mul_i32 s2, s2, s3
	v_add_u32_e32 v0, s2, v0
	v_cmp_gt_i32_e32 vcc, s4, v0
	s_and_saveexec_b64 s[2:3], vcc
	s_cbranch_execz .LBB74_8
; %bb.1:
	s_load_dwordx4 s[4:7], s[0:1], 0x8
	s_load_dword s10, s[0:1], 0x20
	v_ashrrev_i32_e32 v1, 31, v0
	v_lshlrev_b64 v[2:3], 2, v[0:1]
	s_load_dwordx2 s[2:3], s[0:1], 0x28
	s_waitcnt lgkmcnt(0)
	v_lshl_add_u64 v[4:5], s[6:7], 0, v[2:3]
	v_lshl_add_u64 v[6:7], s[4:5], 0, v[2:3]
	global_load_dword v3, v[4:5], off
	global_load_dword v2, v[6:7], off
	s_waitcnt vmcnt(1)
	v_subrev_u32_e32 v6, s10, v3
	s_waitcnt vmcnt(0)
	v_cmp_lt_i32_e32 vcc, v2, v3
	s_and_saveexec_b64 s[4:5], vcc
	s_cbranch_execz .LBB74_7
; %bb.2:
	s_load_dwordx2 s[0:1], s[0:1], 0x18
	v_subrev_u32_e32 v4, s10, v2
	v_ashrrev_i32_e32 v5, 31, v4
                                        ; implicit-def: $sgpr6_sgpr7
	s_waitcnt lgkmcnt(0)
	v_lshl_add_u64 v[2:3], v[4:5], 2, s[0:1]
	s_mov_b64 s[0:1], 0
	s_branch .LBB74_4
.LBB74_3:                               ;   in Loop: Header=BB74_4 Depth=1
	s_or_b64 exec, exec, s[8:9]
	s_and_b64 s[8:9], exec, s[6:7]
	v_mov_b32_e32 v7, v4
	s_or_b64 s[0:1], s[8:9], s[0:1]
	v_mov_b32_e32 v4, v5
	s_andn2_b64 exec, exec, s[0:1]
	s_cbranch_execz .LBB74_6
.LBB74_4:                               ; =>This Inner Loop Header: Depth=1
	global_load_dword v5, v[2:3], off
	s_or_b64 s[6:7], s[6:7], exec
	s_waitcnt vmcnt(0)
	v_subrev_u32_e32 v5, s10, v5
	v_cmp_lt_i32_e32 vcc, v5, v0
                                        ; implicit-def: $vgpr5
	s_and_saveexec_b64 s[8:9], vcc
	s_cbranch_execz .LBB74_3
; %bb.5:                                ;   in Loop: Header=BB74_4 Depth=1
	v_add_u32_e32 v5, 1, v4
	v_cmp_ge_i32_e32 vcc, v5, v6
	s_andn2_b64 s[6:7], s[6:7], exec
	s_and_b64 s[12:13], vcc, exec
	v_lshl_add_u64 v[2:3], v[2:3], 0, 4
	s_or_b64 s[6:7], s[6:7], s[12:13]
	v_mov_b32_e32 v4, v6
	s_branch .LBB74_3
.LBB74_6:
	s_or_b64 exec, exec, s[0:1]
	v_mov_b32_e32 v6, v7
.LBB74_7:
	s_or_b64 exec, exec, s[4:5]
	v_add_u32_e32 v2, s10, v6
	v_lshl_add_u64 v[0:1], v[0:1], 2, s[2:3]
	global_store_dword v[0:1], v2, off
.LBB74_8:
	s_endpgm
	.section	.rodata,"a",@progbits
	.p2align	6, 0x0
	.amdhsa_kernel _ZN9rocsparseL23kernel_compute_lptr_endILj1024ELj32EiiEEvT2_PKT1_S4_PKS1_21rocsparse_index_base_PS2_
		.amdhsa_group_segment_fixed_size 0
		.amdhsa_private_segment_fixed_size 0
		.amdhsa_kernarg_size 304
		.amdhsa_user_sgpr_count 2
		.amdhsa_user_sgpr_dispatch_ptr 0
		.amdhsa_user_sgpr_queue_ptr 0
		.amdhsa_user_sgpr_kernarg_segment_ptr 1
		.amdhsa_user_sgpr_dispatch_id 0
		.amdhsa_user_sgpr_kernarg_preload_length 0
		.amdhsa_user_sgpr_kernarg_preload_offset 0
		.amdhsa_user_sgpr_private_segment_size 0
		.amdhsa_uses_dynamic_stack 0
		.amdhsa_enable_private_segment 0
		.amdhsa_system_sgpr_workgroup_id_x 1
		.amdhsa_system_sgpr_workgroup_id_y 0
		.amdhsa_system_sgpr_workgroup_id_z 0
		.amdhsa_system_sgpr_workgroup_info 0
		.amdhsa_system_vgpr_workitem_id 0
		.amdhsa_next_free_vgpr 8
		.amdhsa_next_free_sgpr 14
		.amdhsa_accum_offset 8
		.amdhsa_reserve_vcc 1
		.amdhsa_float_round_mode_32 0
		.amdhsa_float_round_mode_16_64 0
		.amdhsa_float_denorm_mode_32 3
		.amdhsa_float_denorm_mode_16_64 3
		.amdhsa_dx10_clamp 1
		.amdhsa_ieee_mode 1
		.amdhsa_fp16_overflow 0
		.amdhsa_tg_split 0
		.amdhsa_exception_fp_ieee_invalid_op 0
		.amdhsa_exception_fp_denorm_src 0
		.amdhsa_exception_fp_ieee_div_zero 0
		.amdhsa_exception_fp_ieee_overflow 0
		.amdhsa_exception_fp_ieee_underflow 0
		.amdhsa_exception_fp_ieee_inexact 0
		.amdhsa_exception_int_div_zero 0
	.end_amdhsa_kernel
	.section	.text._ZN9rocsparseL23kernel_compute_lptr_endILj1024ELj32EiiEEvT2_PKT1_S4_PKS1_21rocsparse_index_base_PS2_,"axG",@progbits,_ZN9rocsparseL23kernel_compute_lptr_endILj1024ELj32EiiEEvT2_PKT1_S4_PKS1_21rocsparse_index_base_PS2_,comdat
.Lfunc_end74:
	.size	_ZN9rocsparseL23kernel_compute_lptr_endILj1024ELj32EiiEEvT2_PKT1_S4_PKS1_21rocsparse_index_base_PS2_, .Lfunc_end74-_ZN9rocsparseL23kernel_compute_lptr_endILj1024ELj32EiiEEvT2_PKT1_S4_PKS1_21rocsparse_index_base_PS2_
                                        ; -- End function
	.set _ZN9rocsparseL23kernel_compute_lptr_endILj1024ELj32EiiEEvT2_PKT1_S4_PKS1_21rocsparse_index_base_PS2_.num_vgpr, 8
	.set _ZN9rocsparseL23kernel_compute_lptr_endILj1024ELj32EiiEEvT2_PKT1_S4_PKS1_21rocsparse_index_base_PS2_.num_agpr, 0
	.set _ZN9rocsparseL23kernel_compute_lptr_endILj1024ELj32EiiEEvT2_PKT1_S4_PKS1_21rocsparse_index_base_PS2_.numbered_sgpr, 14
	.set _ZN9rocsparseL23kernel_compute_lptr_endILj1024ELj32EiiEEvT2_PKT1_S4_PKS1_21rocsparse_index_base_PS2_.num_named_barrier, 0
	.set _ZN9rocsparseL23kernel_compute_lptr_endILj1024ELj32EiiEEvT2_PKT1_S4_PKS1_21rocsparse_index_base_PS2_.private_seg_size, 0
	.set _ZN9rocsparseL23kernel_compute_lptr_endILj1024ELj32EiiEEvT2_PKT1_S4_PKS1_21rocsparse_index_base_PS2_.uses_vcc, 1
	.set _ZN9rocsparseL23kernel_compute_lptr_endILj1024ELj32EiiEEvT2_PKT1_S4_PKS1_21rocsparse_index_base_PS2_.uses_flat_scratch, 0
	.set _ZN9rocsparseL23kernel_compute_lptr_endILj1024ELj32EiiEEvT2_PKT1_S4_PKS1_21rocsparse_index_base_PS2_.has_dyn_sized_stack, 0
	.set _ZN9rocsparseL23kernel_compute_lptr_endILj1024ELj32EiiEEvT2_PKT1_S4_PKS1_21rocsparse_index_base_PS2_.has_recursion, 0
	.set _ZN9rocsparseL23kernel_compute_lptr_endILj1024ELj32EiiEEvT2_PKT1_S4_PKS1_21rocsparse_index_base_PS2_.has_indirect_call, 0
	.section	.AMDGPU.csdata,"",@progbits
; Kernel info:
; codeLenInByte = 312
; TotalNumSgprs: 20
; NumVgprs: 8
; NumAgprs: 0
; TotalNumVgprs: 8
; ScratchSize: 0
; MemoryBound: 0
; FloatMode: 240
; IeeeMode: 1
; LDSByteSize: 0 bytes/workgroup (compile time only)
; SGPRBlocks: 2
; VGPRBlocks: 0
; NumSGPRsForWavesPerEU: 20
; NumVGPRsForWavesPerEU: 8
; AccumOffset: 8
; Occupancy: 8
; WaveLimiterHint : 0
; COMPUTE_PGM_RSRC2:SCRATCH_EN: 0
; COMPUTE_PGM_RSRC2:USER_SGPR: 2
; COMPUTE_PGM_RSRC2:TRAP_HANDLER: 0
; COMPUTE_PGM_RSRC2:TGID_X_EN: 1
; COMPUTE_PGM_RSRC2:TGID_Y_EN: 0
; COMPUTE_PGM_RSRC2:TGID_Z_EN: 0
; COMPUTE_PGM_RSRC2:TIDIG_COMP_CNT: 0
; COMPUTE_PGM_RSRC3_GFX90A:ACCUM_OFFSET: 1
; COMPUTE_PGM_RSRC3_GFX90A:TG_SPLIT: 0
	.section	.text._ZN9rocsparseL23kernel_compute_lptr_endILj1024ELj64EiiEEvT2_PKT1_S4_PKS1_21rocsparse_index_base_PS2_,"axG",@progbits,_ZN9rocsparseL23kernel_compute_lptr_endILj1024ELj64EiiEEvT2_PKT1_S4_PKS1_21rocsparse_index_base_PS2_,comdat
	.globl	_ZN9rocsparseL23kernel_compute_lptr_endILj1024ELj64EiiEEvT2_PKT1_S4_PKS1_21rocsparse_index_base_PS2_ ; -- Begin function _ZN9rocsparseL23kernel_compute_lptr_endILj1024ELj64EiiEEvT2_PKT1_S4_PKS1_21rocsparse_index_base_PS2_
	.p2align	8
	.type	_ZN9rocsparseL23kernel_compute_lptr_endILj1024ELj64EiiEEvT2_PKT1_S4_PKS1_21rocsparse_index_base_PS2_,@function
_ZN9rocsparseL23kernel_compute_lptr_endILj1024ELj64EiiEEvT2_PKT1_S4_PKS1_21rocsparse_index_base_PS2_: ; @_ZN9rocsparseL23kernel_compute_lptr_endILj1024ELj64EiiEEvT2_PKT1_S4_PKS1_21rocsparse_index_base_PS2_
; %bb.0:
	s_load_dword s3, s[0:1], 0x3c
	s_load_dword s4, s[0:1], 0x0
	s_waitcnt lgkmcnt(0)
	s_and_b32 s3, s3, 0xffff
	s_mul_i32 s2, s2, s3
	v_add_u32_e32 v0, s2, v0
	v_cmp_gt_i32_e32 vcc, s4, v0
	s_and_saveexec_b64 s[2:3], vcc
	s_cbranch_execz .LBB75_8
; %bb.1:
	s_load_dwordx4 s[4:7], s[0:1], 0x8
	s_load_dword s10, s[0:1], 0x20
	v_ashrrev_i32_e32 v1, 31, v0
	v_lshlrev_b64 v[2:3], 2, v[0:1]
	s_load_dwordx2 s[2:3], s[0:1], 0x28
	s_waitcnt lgkmcnt(0)
	v_lshl_add_u64 v[4:5], s[6:7], 0, v[2:3]
	v_lshl_add_u64 v[6:7], s[4:5], 0, v[2:3]
	global_load_dword v3, v[4:5], off
	global_load_dword v2, v[6:7], off
	s_waitcnt vmcnt(1)
	v_subrev_u32_e32 v6, s10, v3
	s_waitcnt vmcnt(0)
	v_cmp_lt_i32_e32 vcc, v2, v3
	s_and_saveexec_b64 s[4:5], vcc
	s_cbranch_execz .LBB75_7
; %bb.2:
	s_load_dwordx2 s[0:1], s[0:1], 0x18
	v_subrev_u32_e32 v4, s10, v2
	v_ashrrev_i32_e32 v5, 31, v4
                                        ; implicit-def: $sgpr6_sgpr7
	s_waitcnt lgkmcnt(0)
	v_lshl_add_u64 v[2:3], v[4:5], 2, s[0:1]
	s_mov_b64 s[0:1], 0
	s_branch .LBB75_4
.LBB75_3:                               ;   in Loop: Header=BB75_4 Depth=1
	s_or_b64 exec, exec, s[8:9]
	s_and_b64 s[8:9], exec, s[6:7]
	v_mov_b32_e32 v7, v4
	s_or_b64 s[0:1], s[8:9], s[0:1]
	v_mov_b32_e32 v4, v5
	s_andn2_b64 exec, exec, s[0:1]
	s_cbranch_execz .LBB75_6
.LBB75_4:                               ; =>This Inner Loop Header: Depth=1
	global_load_dword v5, v[2:3], off
	s_or_b64 s[6:7], s[6:7], exec
	s_waitcnt vmcnt(0)
	v_subrev_u32_e32 v5, s10, v5
	v_cmp_lt_i32_e32 vcc, v5, v0
                                        ; implicit-def: $vgpr5
	s_and_saveexec_b64 s[8:9], vcc
	s_cbranch_execz .LBB75_3
; %bb.5:                                ;   in Loop: Header=BB75_4 Depth=1
	v_add_u32_e32 v5, 1, v4
	v_cmp_ge_i32_e32 vcc, v5, v6
	s_andn2_b64 s[6:7], s[6:7], exec
	s_and_b64 s[12:13], vcc, exec
	v_lshl_add_u64 v[2:3], v[2:3], 0, 4
	s_or_b64 s[6:7], s[6:7], s[12:13]
	v_mov_b32_e32 v4, v6
	s_branch .LBB75_3
.LBB75_6:
	s_or_b64 exec, exec, s[0:1]
	v_mov_b32_e32 v6, v7
.LBB75_7:
	s_or_b64 exec, exec, s[4:5]
	v_add_u32_e32 v2, s10, v6
	v_lshl_add_u64 v[0:1], v[0:1], 2, s[2:3]
	global_store_dword v[0:1], v2, off
.LBB75_8:
	s_endpgm
	.section	.rodata,"a",@progbits
	.p2align	6, 0x0
	.amdhsa_kernel _ZN9rocsparseL23kernel_compute_lptr_endILj1024ELj64EiiEEvT2_PKT1_S4_PKS1_21rocsparse_index_base_PS2_
		.amdhsa_group_segment_fixed_size 0
		.amdhsa_private_segment_fixed_size 0
		.amdhsa_kernarg_size 304
		.amdhsa_user_sgpr_count 2
		.amdhsa_user_sgpr_dispatch_ptr 0
		.amdhsa_user_sgpr_queue_ptr 0
		.amdhsa_user_sgpr_kernarg_segment_ptr 1
		.amdhsa_user_sgpr_dispatch_id 0
		.amdhsa_user_sgpr_kernarg_preload_length 0
		.amdhsa_user_sgpr_kernarg_preload_offset 0
		.amdhsa_user_sgpr_private_segment_size 0
		.amdhsa_uses_dynamic_stack 0
		.amdhsa_enable_private_segment 0
		.amdhsa_system_sgpr_workgroup_id_x 1
		.amdhsa_system_sgpr_workgroup_id_y 0
		.amdhsa_system_sgpr_workgroup_id_z 0
		.amdhsa_system_sgpr_workgroup_info 0
		.amdhsa_system_vgpr_workitem_id 0
		.amdhsa_next_free_vgpr 8
		.amdhsa_next_free_sgpr 14
		.amdhsa_accum_offset 8
		.amdhsa_reserve_vcc 1
		.amdhsa_float_round_mode_32 0
		.amdhsa_float_round_mode_16_64 0
		.amdhsa_float_denorm_mode_32 3
		.amdhsa_float_denorm_mode_16_64 3
		.amdhsa_dx10_clamp 1
		.amdhsa_ieee_mode 1
		.amdhsa_fp16_overflow 0
		.amdhsa_tg_split 0
		.amdhsa_exception_fp_ieee_invalid_op 0
		.amdhsa_exception_fp_denorm_src 0
		.amdhsa_exception_fp_ieee_div_zero 0
		.amdhsa_exception_fp_ieee_overflow 0
		.amdhsa_exception_fp_ieee_underflow 0
		.amdhsa_exception_fp_ieee_inexact 0
		.amdhsa_exception_int_div_zero 0
	.end_amdhsa_kernel
	.section	.text._ZN9rocsparseL23kernel_compute_lptr_endILj1024ELj64EiiEEvT2_PKT1_S4_PKS1_21rocsparse_index_base_PS2_,"axG",@progbits,_ZN9rocsparseL23kernel_compute_lptr_endILj1024ELj64EiiEEvT2_PKT1_S4_PKS1_21rocsparse_index_base_PS2_,comdat
.Lfunc_end75:
	.size	_ZN9rocsparseL23kernel_compute_lptr_endILj1024ELj64EiiEEvT2_PKT1_S4_PKS1_21rocsparse_index_base_PS2_, .Lfunc_end75-_ZN9rocsparseL23kernel_compute_lptr_endILj1024ELj64EiiEEvT2_PKT1_S4_PKS1_21rocsparse_index_base_PS2_
                                        ; -- End function
	.set _ZN9rocsparseL23kernel_compute_lptr_endILj1024ELj64EiiEEvT2_PKT1_S4_PKS1_21rocsparse_index_base_PS2_.num_vgpr, 8
	.set _ZN9rocsparseL23kernel_compute_lptr_endILj1024ELj64EiiEEvT2_PKT1_S4_PKS1_21rocsparse_index_base_PS2_.num_agpr, 0
	.set _ZN9rocsparseL23kernel_compute_lptr_endILj1024ELj64EiiEEvT2_PKT1_S4_PKS1_21rocsparse_index_base_PS2_.numbered_sgpr, 14
	.set _ZN9rocsparseL23kernel_compute_lptr_endILj1024ELj64EiiEEvT2_PKT1_S4_PKS1_21rocsparse_index_base_PS2_.num_named_barrier, 0
	.set _ZN9rocsparseL23kernel_compute_lptr_endILj1024ELj64EiiEEvT2_PKT1_S4_PKS1_21rocsparse_index_base_PS2_.private_seg_size, 0
	.set _ZN9rocsparseL23kernel_compute_lptr_endILj1024ELj64EiiEEvT2_PKT1_S4_PKS1_21rocsparse_index_base_PS2_.uses_vcc, 1
	.set _ZN9rocsparseL23kernel_compute_lptr_endILj1024ELj64EiiEEvT2_PKT1_S4_PKS1_21rocsparse_index_base_PS2_.uses_flat_scratch, 0
	.set _ZN9rocsparseL23kernel_compute_lptr_endILj1024ELj64EiiEEvT2_PKT1_S4_PKS1_21rocsparse_index_base_PS2_.has_dyn_sized_stack, 0
	.set _ZN9rocsparseL23kernel_compute_lptr_endILj1024ELj64EiiEEvT2_PKT1_S4_PKS1_21rocsparse_index_base_PS2_.has_recursion, 0
	.set _ZN9rocsparseL23kernel_compute_lptr_endILj1024ELj64EiiEEvT2_PKT1_S4_PKS1_21rocsparse_index_base_PS2_.has_indirect_call, 0
	.section	.AMDGPU.csdata,"",@progbits
; Kernel info:
; codeLenInByte = 312
; TotalNumSgprs: 20
; NumVgprs: 8
; NumAgprs: 0
; TotalNumVgprs: 8
; ScratchSize: 0
; MemoryBound: 0
; FloatMode: 240
; IeeeMode: 1
; LDSByteSize: 0 bytes/workgroup (compile time only)
; SGPRBlocks: 2
; VGPRBlocks: 0
; NumSGPRsForWavesPerEU: 20
; NumVGPRsForWavesPerEU: 8
; AccumOffset: 8
; Occupancy: 8
; WaveLimiterHint : 0
; COMPUTE_PGM_RSRC2:SCRATCH_EN: 0
; COMPUTE_PGM_RSRC2:USER_SGPR: 2
; COMPUTE_PGM_RSRC2:TRAP_HANDLER: 0
; COMPUTE_PGM_RSRC2:TGID_X_EN: 1
; COMPUTE_PGM_RSRC2:TGID_Y_EN: 0
; COMPUTE_PGM_RSRC2:TGID_Z_EN: 0
; COMPUTE_PGM_RSRC2:TIDIG_COMP_CNT: 0
; COMPUTE_PGM_RSRC3_GFX90A:ACCUM_OFFSET: 1
; COMPUTE_PGM_RSRC3_GFX90A:TG_SPLIT: 0
	.section	.text._ZN9rocsparseL26kernel_initialize_ucsr_ptrILj1024ELj32EiiEEvT2_PKT1_S4_PS2_21rocsparse_index_base_,"axG",@progbits,_ZN9rocsparseL26kernel_initialize_ucsr_ptrILj1024ELj32EiiEEvT2_PKT1_S4_PS2_21rocsparse_index_base_,comdat
	.globl	_ZN9rocsparseL26kernel_initialize_ucsr_ptrILj1024ELj32EiiEEvT2_PKT1_S4_PS2_21rocsparse_index_base_ ; -- Begin function _ZN9rocsparseL26kernel_initialize_ucsr_ptrILj1024ELj32EiiEEvT2_PKT1_S4_PS2_21rocsparse_index_base_
	.p2align	8
	.type	_ZN9rocsparseL26kernel_initialize_ucsr_ptrILj1024ELj32EiiEEvT2_PKT1_S4_PS2_21rocsparse_index_base_,@function
_ZN9rocsparseL26kernel_initialize_ucsr_ptrILj1024ELj32EiiEEvT2_PKT1_S4_PS2_21rocsparse_index_base_: ; @_ZN9rocsparseL26kernel_initialize_ucsr_ptrILj1024ELj32EiiEEvT2_PKT1_S4_PS2_21rocsparse_index_base_
; %bb.0:
	s_load_dword s3, s[0:1], 0x34
	s_load_dword s4, s[0:1], 0x0
	s_waitcnt lgkmcnt(0)
	s_and_b32 s3, s3, 0xffff
	s_mul_i32 s2, s2, s3
	v_add_u32_e32 v0, s2, v0
	v_cmp_gt_i32_e32 vcc, s4, v0
	s_and_saveexec_b64 s[2:3], vcc
	s_cbranch_execz .LBB76_4
; %bb.1:
	s_load_dwordx4 s[4:7], s[0:1], 0x8
	s_load_dwordx2 s[2:3], s[0:1], 0x18
	v_cmp_eq_u32_e32 vcc, 0, v0
	s_and_saveexec_b64 s[8:9], vcc
	s_cbranch_execz .LBB76_3
; %bb.2:
	s_load_dword s0, s[0:1], 0x20
	v_mov_b32_e32 v1, 0
	s_waitcnt lgkmcnt(0)
	v_mov_b32_e32 v2, s0
	global_store_dword v1, v2, s[2:3]
.LBB76_3:
	s_or_b64 exec, exec, s[8:9]
	v_ashrrev_i32_e32 v1, 31, v0
	v_lshlrev_b64 v[0:1], 2, v[0:1]
	s_waitcnt lgkmcnt(0)
	v_lshl_add_u64 v[2:3], s[6:7], 0, v[0:1]
	global_load_dword v4, v[2:3], off
	v_lshl_add_u64 v[2:3], s[4:5], 0, v[0:1]
	global_load_dword v2, v[2:3], off
	v_lshl_add_u64 v[0:1], s[2:3], 0, v[0:1]
	s_waitcnt vmcnt(0)
	v_xad_u32 v2, v2, -1, v4
	global_store_dword v[0:1], v2, off offset:4
.LBB76_4:
	s_endpgm
	.section	.rodata,"a",@progbits
	.p2align	6, 0x0
	.amdhsa_kernel _ZN9rocsparseL26kernel_initialize_ucsr_ptrILj1024ELj32EiiEEvT2_PKT1_S4_PS2_21rocsparse_index_base_
		.amdhsa_group_segment_fixed_size 0
		.amdhsa_private_segment_fixed_size 0
		.amdhsa_kernarg_size 296
		.amdhsa_user_sgpr_count 2
		.amdhsa_user_sgpr_dispatch_ptr 0
		.amdhsa_user_sgpr_queue_ptr 0
		.amdhsa_user_sgpr_kernarg_segment_ptr 1
		.amdhsa_user_sgpr_dispatch_id 0
		.amdhsa_user_sgpr_kernarg_preload_length 0
		.amdhsa_user_sgpr_kernarg_preload_offset 0
		.amdhsa_user_sgpr_private_segment_size 0
		.amdhsa_uses_dynamic_stack 0
		.amdhsa_enable_private_segment 0
		.amdhsa_system_sgpr_workgroup_id_x 1
		.amdhsa_system_sgpr_workgroup_id_y 0
		.amdhsa_system_sgpr_workgroup_id_z 0
		.amdhsa_system_sgpr_workgroup_info 0
		.amdhsa_system_vgpr_workitem_id 0
		.amdhsa_next_free_vgpr 5
		.amdhsa_next_free_sgpr 10
		.amdhsa_accum_offset 8
		.amdhsa_reserve_vcc 1
		.amdhsa_float_round_mode_32 0
		.amdhsa_float_round_mode_16_64 0
		.amdhsa_float_denorm_mode_32 3
		.amdhsa_float_denorm_mode_16_64 3
		.amdhsa_dx10_clamp 1
		.amdhsa_ieee_mode 1
		.amdhsa_fp16_overflow 0
		.amdhsa_tg_split 0
		.amdhsa_exception_fp_ieee_invalid_op 0
		.amdhsa_exception_fp_denorm_src 0
		.amdhsa_exception_fp_ieee_div_zero 0
		.amdhsa_exception_fp_ieee_overflow 0
		.amdhsa_exception_fp_ieee_underflow 0
		.amdhsa_exception_fp_ieee_inexact 0
		.amdhsa_exception_int_div_zero 0
	.end_amdhsa_kernel
	.section	.text._ZN9rocsparseL26kernel_initialize_ucsr_ptrILj1024ELj32EiiEEvT2_PKT1_S4_PS2_21rocsparse_index_base_,"axG",@progbits,_ZN9rocsparseL26kernel_initialize_ucsr_ptrILj1024ELj32EiiEEvT2_PKT1_S4_PS2_21rocsparse_index_base_,comdat
.Lfunc_end76:
	.size	_ZN9rocsparseL26kernel_initialize_ucsr_ptrILj1024ELj32EiiEEvT2_PKT1_S4_PS2_21rocsparse_index_base_, .Lfunc_end76-_ZN9rocsparseL26kernel_initialize_ucsr_ptrILj1024ELj32EiiEEvT2_PKT1_S4_PS2_21rocsparse_index_base_
                                        ; -- End function
	.set _ZN9rocsparseL26kernel_initialize_ucsr_ptrILj1024ELj32EiiEEvT2_PKT1_S4_PS2_21rocsparse_index_base_.num_vgpr, 5
	.set _ZN9rocsparseL26kernel_initialize_ucsr_ptrILj1024ELj32EiiEEvT2_PKT1_S4_PS2_21rocsparse_index_base_.num_agpr, 0
	.set _ZN9rocsparseL26kernel_initialize_ucsr_ptrILj1024ELj32EiiEEvT2_PKT1_S4_PS2_21rocsparse_index_base_.numbered_sgpr, 10
	.set _ZN9rocsparseL26kernel_initialize_ucsr_ptrILj1024ELj32EiiEEvT2_PKT1_S4_PS2_21rocsparse_index_base_.num_named_barrier, 0
	.set _ZN9rocsparseL26kernel_initialize_ucsr_ptrILj1024ELj32EiiEEvT2_PKT1_S4_PS2_21rocsparse_index_base_.private_seg_size, 0
	.set _ZN9rocsparseL26kernel_initialize_ucsr_ptrILj1024ELj32EiiEEvT2_PKT1_S4_PS2_21rocsparse_index_base_.uses_vcc, 1
	.set _ZN9rocsparseL26kernel_initialize_ucsr_ptrILj1024ELj32EiiEEvT2_PKT1_S4_PS2_21rocsparse_index_base_.uses_flat_scratch, 0
	.set _ZN9rocsparseL26kernel_initialize_ucsr_ptrILj1024ELj32EiiEEvT2_PKT1_S4_PS2_21rocsparse_index_base_.has_dyn_sized_stack, 0
	.set _ZN9rocsparseL26kernel_initialize_ucsr_ptrILj1024ELj32EiiEEvT2_PKT1_S4_PS2_21rocsparse_index_base_.has_recursion, 0
	.set _ZN9rocsparseL26kernel_initialize_ucsr_ptrILj1024ELj32EiiEEvT2_PKT1_S4_PS2_21rocsparse_index_base_.has_indirect_call, 0
	.section	.AMDGPU.csdata,"",@progbits
; Kernel info:
; codeLenInByte = 188
; TotalNumSgprs: 16
; NumVgprs: 5
; NumAgprs: 0
; TotalNumVgprs: 5
; ScratchSize: 0
; MemoryBound: 0
; FloatMode: 240
; IeeeMode: 1
; LDSByteSize: 0 bytes/workgroup (compile time only)
; SGPRBlocks: 1
; VGPRBlocks: 0
; NumSGPRsForWavesPerEU: 16
; NumVGPRsForWavesPerEU: 5
; AccumOffset: 8
; Occupancy: 8
; WaveLimiterHint : 0
; COMPUTE_PGM_RSRC2:SCRATCH_EN: 0
; COMPUTE_PGM_RSRC2:USER_SGPR: 2
; COMPUTE_PGM_RSRC2:TRAP_HANDLER: 0
; COMPUTE_PGM_RSRC2:TGID_X_EN: 1
; COMPUTE_PGM_RSRC2:TGID_Y_EN: 0
; COMPUTE_PGM_RSRC2:TGID_Z_EN: 0
; COMPUTE_PGM_RSRC2:TIDIG_COMP_CNT: 0
; COMPUTE_PGM_RSRC3_GFX90A:ACCUM_OFFSET: 1
; COMPUTE_PGM_RSRC3_GFX90A:TG_SPLIT: 0
	.section	.text._ZN9rocsparseL26kernel_initialize_ucsr_ptrILj1024ELj64EiiEEvT2_PKT1_S4_PS2_21rocsparse_index_base_,"axG",@progbits,_ZN9rocsparseL26kernel_initialize_ucsr_ptrILj1024ELj64EiiEEvT2_PKT1_S4_PS2_21rocsparse_index_base_,comdat
	.globl	_ZN9rocsparseL26kernel_initialize_ucsr_ptrILj1024ELj64EiiEEvT2_PKT1_S4_PS2_21rocsparse_index_base_ ; -- Begin function _ZN9rocsparseL26kernel_initialize_ucsr_ptrILj1024ELj64EiiEEvT2_PKT1_S4_PS2_21rocsparse_index_base_
	.p2align	8
	.type	_ZN9rocsparseL26kernel_initialize_ucsr_ptrILj1024ELj64EiiEEvT2_PKT1_S4_PS2_21rocsparse_index_base_,@function
_ZN9rocsparseL26kernel_initialize_ucsr_ptrILj1024ELj64EiiEEvT2_PKT1_S4_PS2_21rocsparse_index_base_: ; @_ZN9rocsparseL26kernel_initialize_ucsr_ptrILj1024ELj64EiiEEvT2_PKT1_S4_PS2_21rocsparse_index_base_
; %bb.0:
	s_load_dword s3, s[0:1], 0x34
	s_load_dword s4, s[0:1], 0x0
	s_waitcnt lgkmcnt(0)
	s_and_b32 s3, s3, 0xffff
	s_mul_i32 s2, s2, s3
	v_add_u32_e32 v0, s2, v0
	v_cmp_gt_i32_e32 vcc, s4, v0
	s_and_saveexec_b64 s[2:3], vcc
	s_cbranch_execz .LBB77_4
; %bb.1:
	s_load_dwordx4 s[4:7], s[0:1], 0x8
	s_load_dwordx2 s[2:3], s[0:1], 0x18
	v_cmp_eq_u32_e32 vcc, 0, v0
	s_and_saveexec_b64 s[8:9], vcc
	s_cbranch_execz .LBB77_3
; %bb.2:
	s_load_dword s0, s[0:1], 0x20
	v_mov_b32_e32 v1, 0
	s_waitcnt lgkmcnt(0)
	v_mov_b32_e32 v2, s0
	global_store_dword v1, v2, s[2:3]
.LBB77_3:
	s_or_b64 exec, exec, s[8:9]
	v_ashrrev_i32_e32 v1, 31, v0
	v_lshlrev_b64 v[0:1], 2, v[0:1]
	s_waitcnt lgkmcnt(0)
	v_lshl_add_u64 v[2:3], s[6:7], 0, v[0:1]
	global_load_dword v4, v[2:3], off
	v_lshl_add_u64 v[2:3], s[4:5], 0, v[0:1]
	global_load_dword v2, v[2:3], off
	v_lshl_add_u64 v[0:1], s[2:3], 0, v[0:1]
	s_waitcnt vmcnt(0)
	v_xad_u32 v2, v2, -1, v4
	global_store_dword v[0:1], v2, off offset:4
.LBB77_4:
	s_endpgm
	.section	.rodata,"a",@progbits
	.p2align	6, 0x0
	.amdhsa_kernel _ZN9rocsparseL26kernel_initialize_ucsr_ptrILj1024ELj64EiiEEvT2_PKT1_S4_PS2_21rocsparse_index_base_
		.amdhsa_group_segment_fixed_size 0
		.amdhsa_private_segment_fixed_size 0
		.amdhsa_kernarg_size 296
		.amdhsa_user_sgpr_count 2
		.amdhsa_user_sgpr_dispatch_ptr 0
		.amdhsa_user_sgpr_queue_ptr 0
		.amdhsa_user_sgpr_kernarg_segment_ptr 1
		.amdhsa_user_sgpr_dispatch_id 0
		.amdhsa_user_sgpr_kernarg_preload_length 0
		.amdhsa_user_sgpr_kernarg_preload_offset 0
		.amdhsa_user_sgpr_private_segment_size 0
		.amdhsa_uses_dynamic_stack 0
		.amdhsa_enable_private_segment 0
		.amdhsa_system_sgpr_workgroup_id_x 1
		.amdhsa_system_sgpr_workgroup_id_y 0
		.amdhsa_system_sgpr_workgroup_id_z 0
		.amdhsa_system_sgpr_workgroup_info 0
		.amdhsa_system_vgpr_workitem_id 0
		.amdhsa_next_free_vgpr 5
		.amdhsa_next_free_sgpr 10
		.amdhsa_accum_offset 8
		.amdhsa_reserve_vcc 1
		.amdhsa_float_round_mode_32 0
		.amdhsa_float_round_mode_16_64 0
		.amdhsa_float_denorm_mode_32 3
		.amdhsa_float_denorm_mode_16_64 3
		.amdhsa_dx10_clamp 1
		.amdhsa_ieee_mode 1
		.amdhsa_fp16_overflow 0
		.amdhsa_tg_split 0
		.amdhsa_exception_fp_ieee_invalid_op 0
		.amdhsa_exception_fp_denorm_src 0
		.amdhsa_exception_fp_ieee_div_zero 0
		.amdhsa_exception_fp_ieee_overflow 0
		.amdhsa_exception_fp_ieee_underflow 0
		.amdhsa_exception_fp_ieee_inexact 0
		.amdhsa_exception_int_div_zero 0
	.end_amdhsa_kernel
	.section	.text._ZN9rocsparseL26kernel_initialize_ucsr_ptrILj1024ELj64EiiEEvT2_PKT1_S4_PS2_21rocsparse_index_base_,"axG",@progbits,_ZN9rocsparseL26kernel_initialize_ucsr_ptrILj1024ELj64EiiEEvT2_PKT1_S4_PS2_21rocsparse_index_base_,comdat
.Lfunc_end77:
	.size	_ZN9rocsparseL26kernel_initialize_ucsr_ptrILj1024ELj64EiiEEvT2_PKT1_S4_PS2_21rocsparse_index_base_, .Lfunc_end77-_ZN9rocsparseL26kernel_initialize_ucsr_ptrILj1024ELj64EiiEEvT2_PKT1_S4_PS2_21rocsparse_index_base_
                                        ; -- End function
	.set _ZN9rocsparseL26kernel_initialize_ucsr_ptrILj1024ELj64EiiEEvT2_PKT1_S4_PS2_21rocsparse_index_base_.num_vgpr, 5
	.set _ZN9rocsparseL26kernel_initialize_ucsr_ptrILj1024ELj64EiiEEvT2_PKT1_S4_PS2_21rocsparse_index_base_.num_agpr, 0
	.set _ZN9rocsparseL26kernel_initialize_ucsr_ptrILj1024ELj64EiiEEvT2_PKT1_S4_PS2_21rocsparse_index_base_.numbered_sgpr, 10
	.set _ZN9rocsparseL26kernel_initialize_ucsr_ptrILj1024ELj64EiiEEvT2_PKT1_S4_PS2_21rocsparse_index_base_.num_named_barrier, 0
	.set _ZN9rocsparseL26kernel_initialize_ucsr_ptrILj1024ELj64EiiEEvT2_PKT1_S4_PS2_21rocsparse_index_base_.private_seg_size, 0
	.set _ZN9rocsparseL26kernel_initialize_ucsr_ptrILj1024ELj64EiiEEvT2_PKT1_S4_PS2_21rocsparse_index_base_.uses_vcc, 1
	.set _ZN9rocsparseL26kernel_initialize_ucsr_ptrILj1024ELj64EiiEEvT2_PKT1_S4_PS2_21rocsparse_index_base_.uses_flat_scratch, 0
	.set _ZN9rocsparseL26kernel_initialize_ucsr_ptrILj1024ELj64EiiEEvT2_PKT1_S4_PS2_21rocsparse_index_base_.has_dyn_sized_stack, 0
	.set _ZN9rocsparseL26kernel_initialize_ucsr_ptrILj1024ELj64EiiEEvT2_PKT1_S4_PS2_21rocsparse_index_base_.has_recursion, 0
	.set _ZN9rocsparseL26kernel_initialize_ucsr_ptrILj1024ELj64EiiEEvT2_PKT1_S4_PS2_21rocsparse_index_base_.has_indirect_call, 0
	.section	.AMDGPU.csdata,"",@progbits
; Kernel info:
; codeLenInByte = 188
; TotalNumSgprs: 16
; NumVgprs: 5
; NumAgprs: 0
; TotalNumVgprs: 5
; ScratchSize: 0
; MemoryBound: 0
; FloatMode: 240
; IeeeMode: 1
; LDSByteSize: 0 bytes/workgroup (compile time only)
; SGPRBlocks: 1
; VGPRBlocks: 0
; NumSGPRsForWavesPerEU: 16
; NumVGPRsForWavesPerEU: 5
; AccumOffset: 8
; Occupancy: 8
; WaveLimiterHint : 0
; COMPUTE_PGM_RSRC2:SCRATCH_EN: 0
; COMPUTE_PGM_RSRC2:USER_SGPR: 2
; COMPUTE_PGM_RSRC2:TRAP_HANDLER: 0
; COMPUTE_PGM_RSRC2:TGID_X_EN: 1
; COMPUTE_PGM_RSRC2:TGID_Y_EN: 0
; COMPUTE_PGM_RSRC2:TGID_Z_EN: 0
; COMPUTE_PGM_RSRC2:TIDIG_COMP_CNT: 0
; COMPUTE_PGM_RSRC3_GFX90A:ACCUM_OFFSET: 1
; COMPUTE_PGM_RSRC3_GFX90A:TG_SPLIT: 0
	.section	.text._ZN9rocsparseL18kernel_compute_cooILj1024ELj32EiiEEvT2_PKT1_S4_PKS1_21rocsparse_index_base_S4_PS1_S8_PS2_,"axG",@progbits,_ZN9rocsparseL18kernel_compute_cooILj1024ELj32EiiEEvT2_PKT1_S4_PKS1_21rocsparse_index_base_S4_PS1_S8_PS2_,comdat
	.globl	_ZN9rocsparseL18kernel_compute_cooILj1024ELj32EiiEEvT2_PKT1_S4_PKS1_21rocsparse_index_base_S4_PS1_S8_PS2_ ; -- Begin function _ZN9rocsparseL18kernel_compute_cooILj1024ELj32EiiEEvT2_PKT1_S4_PKS1_21rocsparse_index_base_S4_PS1_S8_PS2_
	.p2align	8
	.type	_ZN9rocsparseL18kernel_compute_cooILj1024ELj32EiiEEvT2_PKT1_S4_PKS1_21rocsparse_index_base_S4_PS1_S8_PS2_,@function
_ZN9rocsparseL18kernel_compute_cooILj1024ELj32EiiEEvT2_PKT1_S4_PKS1_21rocsparse_index_base_S4_PS1_S8_PS2_: ; @_ZN9rocsparseL18kernel_compute_cooILj1024ELj32EiiEEvT2_PKT1_S4_PKS1_21rocsparse_index_base_S4_PS1_S8_PS2_
; %bb.0:
	s_load_dword s3, s[0:1], 0x54
	s_load_dword s4, s[0:1], 0x0
	s_waitcnt lgkmcnt(0)
	s_and_b32 s3, s3, 0xffff
	s_mul_i32 s2, s2, s3
	v_add_u32_e32 v0, s2, v0
	v_cmp_gt_i32_e32 vcc, s4, v0
	s_and_saveexec_b64 s[2:3], vcc
	s_cbranch_execz .LBB78_11
; %bb.1:
	s_load_dwordx4 s[4:7], s[0:1], 0x8
	v_ashrrev_i32_e32 v1, 31, v0
	v_lshlrev_b64 v[2:3], 2, v[0:1]
	s_waitcnt lgkmcnt(0)
	v_lshl_add_u64 v[6:7], s[4:5], 0, v[2:3]
	v_lshl_add_u64 v[8:9], s[6:7], 0, v[2:3]
	global_load_dword v3, v[6:7], off
	global_load_dword v4, v[8:9], off
	s_waitcnt vmcnt(0)
	v_xad_u32 v6, v3, -1, v4
	v_cmp_lt_i32_e32 vcc, 0, v6
	s_and_b64 exec, exec, vcc
	s_cbranch_execz .LBB78_11
; %bb.2:
	s_load_dwordx8 s[4:11], s[0:1], 0x28
	v_cmp_lt_u32_e32 vcc, 3, v6
	s_waitcnt lgkmcnt(0)
	v_lshl_add_u64 v[8:9], v[0:1], 2, s[4:5]
	global_load_dword v1, v[8:9], off
	s_load_dword s12, s[0:1], 0x20
	s_load_dwordx2 s[2:3], s[0:1], 0x18
	v_cmp_gt_u32_e64 s[4:5], 4, v6
	v_mov_b32_e32 v8, 0
	s_waitcnt lgkmcnt(0)
	v_subrev_u32_e32 v2, s12, v3
	v_add_u32_e32 v0, s12, v0
	v_add_u32_e32 v2, 1, v2
	s_waitcnt vmcnt(0)
	v_subrev_u32_e32 v7, s12, v1
	s_and_saveexec_b64 s[12:13], vcc
	s_cbranch_execz .LBB78_8
; %bb.3:
	v_sub_u32_e32 v1, v4, v3
	v_add_u32_e32 v1, -2, v1
	v_add_u32_e32 v3, v2, v1
	v_add_u32_e32 v1, v7, v1
	v_cmp_ge_i32_e32 vcc, v3, v2
	v_cmp_ge_i32_e64 s[0:1], v1, v7
	s_and_b64 s[16:17], vcc, s[0:1]
	s_mov_b64 s[14:15], -1
	v_mov_b32_e32 v8, 0
	s_and_saveexec_b64 s[0:1], s[16:17]
	s_cbranch_execz .LBB78_7
; %bb.4:
	v_and_b32_e32 v8, 0x7ffffffe, v6
	v_mov_b32_e32 v3, v2
	v_mov_b32_e32 v1, v0
	s_mov_b32 s16, 1
	s_mov_b32 s17, 0
	s_mov_b64 s[14:15], 0
	v_mov_b32_e32 v4, v7
	v_mov_b32_e32 v9, v8
.LBB78_5:                               ; =>This Inner Loop Header: Depth=1
	v_add_u32_e32 v10, s17, v2
	v_ashrrev_i32_e32 v13, 31, v10
	v_mov_b32_e32 v12, v10
	v_lshl_add_u64 v[12:13], v[12:13], 2, s[2:3]
	global_load_dwordx2 v[12:13], v[12:13], off
	v_ashrrev_i32_e32 v5, 31, v4
	v_add_u32_e32 v9, -2, v9
	v_add_u32_e32 v11, s16, v3
	s_add_i32 s17, s17, 2
	s_add_i32 s16, s16, 2
	v_lshlrev_b64 v[14:15], 2, v[4:5]
	v_cmp_eq_u32_e32 vcc, 0, v9
	v_add_u32_e32 v4, 2, v4
	v_lshl_add_u64 v[16:17], s[6:7], 0, v[14:15]
	s_or_b64 s[14:15], vcc, s[14:15]
	v_lshl_add_u64 v[18:19], s[8:9], 0, v[14:15]
	v_lshl_add_u64 v[14:15], s[10:11], 0, v[14:15]
	global_store_dwordx2 v[16:17], v[0:1], off
	global_store_dwordx2 v[14:15], v[10:11], off
	s_waitcnt vmcnt(2)
	global_store_dwordx2 v[18:19], v[12:13], off
	s_andn2_b64 exec, exec, s[14:15]
	s_cbranch_execnz .LBB78_5
; %bb.6:
	s_or_b64 exec, exec, s[14:15]
	v_cmp_ne_u32_e32 vcc, v6, v8
	s_orn2_b64 s[14:15], vcc, exec
.LBB78_7:
	s_or_b64 exec, exec, s[0:1]
	s_andn2_b64 s[0:1], s[4:5], exec
	s_and_b64 s[4:5], s[14:15], exec
	s_or_b64 s[4:5], s[0:1], s[4:5]
.LBB78_8:
	s_or_b64 exec, exec, s[12:13]
	s_and_b64 exec, exec, s[4:5]
	s_cbranch_execz .LBB78_11
; %bb.9:
	s_mov_b64 s[0:1], 0
.LBB78_10:                              ; =>This Inner Loop Header: Depth=1
	v_add_u32_e32 v4, v2, v8
	v_ashrrev_i32_e32 v5, 31, v4
	v_lshl_add_u64 v[10:11], v[4:5], 2, s[2:3]
	global_load_dword v1, v[10:11], off
	v_add_u32_e32 v10, v7, v8
	v_add_u32_e32 v8, 1, v8
	v_ashrrev_i32_e32 v11, 31, v10
	v_cmp_ge_i32_e32 vcc, v8, v6
	v_lshlrev_b64 v[10:11], 2, v[10:11]
	s_or_b64 s[0:1], vcc, s[0:1]
	v_lshl_add_u64 v[12:13], s[6:7], 0, v[10:11]
	v_lshl_add_u64 v[14:15], s[8:9], 0, v[10:11]
	;; [unrolled: 1-line block ×3, first 2 shown]
	global_store_dword v[12:13], v0, off
	global_store_dword v[10:11], v4, off
	s_waitcnt vmcnt(2)
	global_store_dword v[14:15], v1, off
	s_andn2_b64 exec, exec, s[0:1]
	s_cbranch_execnz .LBB78_10
.LBB78_11:
	s_endpgm
	.section	.rodata,"a",@progbits
	.p2align	6, 0x0
	.amdhsa_kernel _ZN9rocsparseL18kernel_compute_cooILj1024ELj32EiiEEvT2_PKT1_S4_PKS1_21rocsparse_index_base_S4_PS1_S8_PS2_
		.amdhsa_group_segment_fixed_size 0
		.amdhsa_private_segment_fixed_size 0
		.amdhsa_kernarg_size 328
		.amdhsa_user_sgpr_count 2
		.amdhsa_user_sgpr_dispatch_ptr 0
		.amdhsa_user_sgpr_queue_ptr 0
		.amdhsa_user_sgpr_kernarg_segment_ptr 1
		.amdhsa_user_sgpr_dispatch_id 0
		.amdhsa_user_sgpr_kernarg_preload_length 0
		.amdhsa_user_sgpr_kernarg_preload_offset 0
		.amdhsa_user_sgpr_private_segment_size 0
		.amdhsa_uses_dynamic_stack 0
		.amdhsa_enable_private_segment 0
		.amdhsa_system_sgpr_workgroup_id_x 1
		.amdhsa_system_sgpr_workgroup_id_y 0
		.amdhsa_system_sgpr_workgroup_id_z 0
		.amdhsa_system_sgpr_workgroup_info 0
		.amdhsa_system_vgpr_workitem_id 0
		.amdhsa_next_free_vgpr 20
		.amdhsa_next_free_sgpr 18
		.amdhsa_accum_offset 20
		.amdhsa_reserve_vcc 1
		.amdhsa_float_round_mode_32 0
		.amdhsa_float_round_mode_16_64 0
		.amdhsa_float_denorm_mode_32 3
		.amdhsa_float_denorm_mode_16_64 3
		.amdhsa_dx10_clamp 1
		.amdhsa_ieee_mode 1
		.amdhsa_fp16_overflow 0
		.amdhsa_tg_split 0
		.amdhsa_exception_fp_ieee_invalid_op 0
		.amdhsa_exception_fp_denorm_src 0
		.amdhsa_exception_fp_ieee_div_zero 0
		.amdhsa_exception_fp_ieee_overflow 0
		.amdhsa_exception_fp_ieee_underflow 0
		.amdhsa_exception_fp_ieee_inexact 0
		.amdhsa_exception_int_div_zero 0
	.end_amdhsa_kernel
	.section	.text._ZN9rocsparseL18kernel_compute_cooILj1024ELj32EiiEEvT2_PKT1_S4_PKS1_21rocsparse_index_base_S4_PS1_S8_PS2_,"axG",@progbits,_ZN9rocsparseL18kernel_compute_cooILj1024ELj32EiiEEvT2_PKT1_S4_PKS1_21rocsparse_index_base_S4_PS1_S8_PS2_,comdat
.Lfunc_end78:
	.size	_ZN9rocsparseL18kernel_compute_cooILj1024ELj32EiiEEvT2_PKT1_S4_PKS1_21rocsparse_index_base_S4_PS1_S8_PS2_, .Lfunc_end78-_ZN9rocsparseL18kernel_compute_cooILj1024ELj32EiiEEvT2_PKT1_S4_PKS1_21rocsparse_index_base_S4_PS1_S8_PS2_
                                        ; -- End function
	.set _ZN9rocsparseL18kernel_compute_cooILj1024ELj32EiiEEvT2_PKT1_S4_PKS1_21rocsparse_index_base_S4_PS1_S8_PS2_.num_vgpr, 20
	.set _ZN9rocsparseL18kernel_compute_cooILj1024ELj32EiiEEvT2_PKT1_S4_PKS1_21rocsparse_index_base_S4_PS1_S8_PS2_.num_agpr, 0
	.set _ZN9rocsparseL18kernel_compute_cooILj1024ELj32EiiEEvT2_PKT1_S4_PKS1_21rocsparse_index_base_S4_PS1_S8_PS2_.numbered_sgpr, 18
	.set _ZN9rocsparseL18kernel_compute_cooILj1024ELj32EiiEEvT2_PKT1_S4_PKS1_21rocsparse_index_base_S4_PS1_S8_PS2_.num_named_barrier, 0
	.set _ZN9rocsparseL18kernel_compute_cooILj1024ELj32EiiEEvT2_PKT1_S4_PKS1_21rocsparse_index_base_S4_PS1_S8_PS2_.private_seg_size, 0
	.set _ZN9rocsparseL18kernel_compute_cooILj1024ELj32EiiEEvT2_PKT1_S4_PKS1_21rocsparse_index_base_S4_PS1_S8_PS2_.uses_vcc, 1
	.set _ZN9rocsparseL18kernel_compute_cooILj1024ELj32EiiEEvT2_PKT1_S4_PKS1_21rocsparse_index_base_S4_PS1_S8_PS2_.uses_flat_scratch, 0
	.set _ZN9rocsparseL18kernel_compute_cooILj1024ELj32EiiEEvT2_PKT1_S4_PKS1_21rocsparse_index_base_S4_PS1_S8_PS2_.has_dyn_sized_stack, 0
	.set _ZN9rocsparseL18kernel_compute_cooILj1024ELj32EiiEEvT2_PKT1_S4_PKS1_21rocsparse_index_base_S4_PS1_S8_PS2_.has_recursion, 0
	.set _ZN9rocsparseL18kernel_compute_cooILj1024ELj32EiiEEvT2_PKT1_S4_PKS1_21rocsparse_index_base_S4_PS1_S8_PS2_.has_indirect_call, 0
	.section	.AMDGPU.csdata,"",@progbits
; Kernel info:
; codeLenInByte = 592
; TotalNumSgprs: 24
; NumVgprs: 20
; NumAgprs: 0
; TotalNumVgprs: 20
; ScratchSize: 0
; MemoryBound: 0
; FloatMode: 240
; IeeeMode: 1
; LDSByteSize: 0 bytes/workgroup (compile time only)
; SGPRBlocks: 2
; VGPRBlocks: 2
; NumSGPRsForWavesPerEU: 24
; NumVGPRsForWavesPerEU: 20
; AccumOffset: 20
; Occupancy: 8
; WaveLimiterHint : 1
; COMPUTE_PGM_RSRC2:SCRATCH_EN: 0
; COMPUTE_PGM_RSRC2:USER_SGPR: 2
; COMPUTE_PGM_RSRC2:TRAP_HANDLER: 0
; COMPUTE_PGM_RSRC2:TGID_X_EN: 1
; COMPUTE_PGM_RSRC2:TGID_Y_EN: 0
; COMPUTE_PGM_RSRC2:TGID_Z_EN: 0
; COMPUTE_PGM_RSRC2:TIDIG_COMP_CNT: 0
; COMPUTE_PGM_RSRC3_GFX90A:ACCUM_OFFSET: 4
; COMPUTE_PGM_RSRC3_GFX90A:TG_SPLIT: 0
	.section	.text._ZN9rocsparseL18kernel_compute_cooILj1024ELj64EiiEEvT2_PKT1_S4_PKS1_21rocsparse_index_base_S4_PS1_S8_PS2_,"axG",@progbits,_ZN9rocsparseL18kernel_compute_cooILj1024ELj64EiiEEvT2_PKT1_S4_PKS1_21rocsparse_index_base_S4_PS1_S8_PS2_,comdat
	.globl	_ZN9rocsparseL18kernel_compute_cooILj1024ELj64EiiEEvT2_PKT1_S4_PKS1_21rocsparse_index_base_S4_PS1_S8_PS2_ ; -- Begin function _ZN9rocsparseL18kernel_compute_cooILj1024ELj64EiiEEvT2_PKT1_S4_PKS1_21rocsparse_index_base_S4_PS1_S8_PS2_
	.p2align	8
	.type	_ZN9rocsparseL18kernel_compute_cooILj1024ELj64EiiEEvT2_PKT1_S4_PKS1_21rocsparse_index_base_S4_PS1_S8_PS2_,@function
_ZN9rocsparseL18kernel_compute_cooILj1024ELj64EiiEEvT2_PKT1_S4_PKS1_21rocsparse_index_base_S4_PS1_S8_PS2_: ; @_ZN9rocsparseL18kernel_compute_cooILj1024ELj64EiiEEvT2_PKT1_S4_PKS1_21rocsparse_index_base_S4_PS1_S8_PS2_
; %bb.0:
	s_load_dword s3, s[0:1], 0x54
	s_load_dword s4, s[0:1], 0x0
	s_waitcnt lgkmcnt(0)
	s_and_b32 s3, s3, 0xffff
	s_mul_i32 s2, s2, s3
	v_add_u32_e32 v0, s2, v0
	v_cmp_gt_i32_e32 vcc, s4, v0
	s_and_saveexec_b64 s[2:3], vcc
	s_cbranch_execz .LBB79_11
; %bb.1:
	s_load_dwordx4 s[4:7], s[0:1], 0x8
	v_ashrrev_i32_e32 v1, 31, v0
	v_lshlrev_b64 v[2:3], 2, v[0:1]
	s_waitcnt lgkmcnt(0)
	v_lshl_add_u64 v[6:7], s[4:5], 0, v[2:3]
	v_lshl_add_u64 v[8:9], s[6:7], 0, v[2:3]
	global_load_dword v3, v[6:7], off
	global_load_dword v4, v[8:9], off
	s_waitcnt vmcnt(0)
	v_xad_u32 v6, v3, -1, v4
	v_cmp_lt_i32_e32 vcc, 0, v6
	s_and_b64 exec, exec, vcc
	s_cbranch_execz .LBB79_11
; %bb.2:
	s_load_dwordx8 s[4:11], s[0:1], 0x28
	v_cmp_lt_u32_e32 vcc, 3, v6
	s_waitcnt lgkmcnt(0)
	v_lshl_add_u64 v[8:9], v[0:1], 2, s[4:5]
	global_load_dword v1, v[8:9], off
	s_load_dword s12, s[0:1], 0x20
	s_load_dwordx2 s[2:3], s[0:1], 0x18
	v_cmp_gt_u32_e64 s[4:5], 4, v6
	v_mov_b32_e32 v8, 0
	s_waitcnt lgkmcnt(0)
	v_subrev_u32_e32 v2, s12, v3
	v_add_u32_e32 v0, s12, v0
	v_add_u32_e32 v2, 1, v2
	s_waitcnt vmcnt(0)
	v_subrev_u32_e32 v7, s12, v1
	s_and_saveexec_b64 s[12:13], vcc
	s_cbranch_execz .LBB79_8
; %bb.3:
	v_sub_u32_e32 v1, v4, v3
	v_add_u32_e32 v1, -2, v1
	v_add_u32_e32 v3, v2, v1
	v_add_u32_e32 v1, v7, v1
	v_cmp_ge_i32_e32 vcc, v3, v2
	v_cmp_ge_i32_e64 s[0:1], v1, v7
	s_and_b64 s[16:17], vcc, s[0:1]
	s_mov_b64 s[14:15], -1
	v_mov_b32_e32 v8, 0
	s_and_saveexec_b64 s[0:1], s[16:17]
	s_cbranch_execz .LBB79_7
; %bb.4:
	v_and_b32_e32 v8, 0x7ffffffe, v6
	v_mov_b32_e32 v3, v2
	v_mov_b32_e32 v1, v0
	s_mov_b32 s16, 1
	s_mov_b32 s17, 0
	s_mov_b64 s[14:15], 0
	v_mov_b32_e32 v4, v7
	v_mov_b32_e32 v9, v8
.LBB79_5:                               ; =>This Inner Loop Header: Depth=1
	v_add_u32_e32 v10, s17, v2
	v_ashrrev_i32_e32 v13, 31, v10
	v_mov_b32_e32 v12, v10
	v_lshl_add_u64 v[12:13], v[12:13], 2, s[2:3]
	global_load_dwordx2 v[12:13], v[12:13], off
	v_ashrrev_i32_e32 v5, 31, v4
	v_add_u32_e32 v9, -2, v9
	v_add_u32_e32 v11, s16, v3
	s_add_i32 s17, s17, 2
	s_add_i32 s16, s16, 2
	v_lshlrev_b64 v[14:15], 2, v[4:5]
	v_cmp_eq_u32_e32 vcc, 0, v9
	v_add_u32_e32 v4, 2, v4
	v_lshl_add_u64 v[16:17], s[6:7], 0, v[14:15]
	s_or_b64 s[14:15], vcc, s[14:15]
	v_lshl_add_u64 v[18:19], s[8:9], 0, v[14:15]
	v_lshl_add_u64 v[14:15], s[10:11], 0, v[14:15]
	global_store_dwordx2 v[16:17], v[0:1], off
	global_store_dwordx2 v[14:15], v[10:11], off
	s_waitcnt vmcnt(2)
	global_store_dwordx2 v[18:19], v[12:13], off
	s_andn2_b64 exec, exec, s[14:15]
	s_cbranch_execnz .LBB79_5
; %bb.6:
	s_or_b64 exec, exec, s[14:15]
	v_cmp_ne_u32_e32 vcc, v6, v8
	s_orn2_b64 s[14:15], vcc, exec
.LBB79_7:
	s_or_b64 exec, exec, s[0:1]
	s_andn2_b64 s[0:1], s[4:5], exec
	s_and_b64 s[4:5], s[14:15], exec
	s_or_b64 s[4:5], s[0:1], s[4:5]
.LBB79_8:
	s_or_b64 exec, exec, s[12:13]
	s_and_b64 exec, exec, s[4:5]
	s_cbranch_execz .LBB79_11
; %bb.9:
	s_mov_b64 s[0:1], 0
.LBB79_10:                              ; =>This Inner Loop Header: Depth=1
	v_add_u32_e32 v4, v2, v8
	v_ashrrev_i32_e32 v5, 31, v4
	v_lshl_add_u64 v[10:11], v[4:5], 2, s[2:3]
	global_load_dword v1, v[10:11], off
	v_add_u32_e32 v10, v7, v8
	v_add_u32_e32 v8, 1, v8
	v_ashrrev_i32_e32 v11, 31, v10
	v_cmp_ge_i32_e32 vcc, v8, v6
	v_lshlrev_b64 v[10:11], 2, v[10:11]
	s_or_b64 s[0:1], vcc, s[0:1]
	v_lshl_add_u64 v[12:13], s[6:7], 0, v[10:11]
	v_lshl_add_u64 v[14:15], s[8:9], 0, v[10:11]
	;; [unrolled: 1-line block ×3, first 2 shown]
	global_store_dword v[12:13], v0, off
	global_store_dword v[10:11], v4, off
	s_waitcnt vmcnt(2)
	global_store_dword v[14:15], v1, off
	s_andn2_b64 exec, exec, s[0:1]
	s_cbranch_execnz .LBB79_10
.LBB79_11:
	s_endpgm
	.section	.rodata,"a",@progbits
	.p2align	6, 0x0
	.amdhsa_kernel _ZN9rocsparseL18kernel_compute_cooILj1024ELj64EiiEEvT2_PKT1_S4_PKS1_21rocsparse_index_base_S4_PS1_S8_PS2_
		.amdhsa_group_segment_fixed_size 0
		.amdhsa_private_segment_fixed_size 0
		.amdhsa_kernarg_size 328
		.amdhsa_user_sgpr_count 2
		.amdhsa_user_sgpr_dispatch_ptr 0
		.amdhsa_user_sgpr_queue_ptr 0
		.amdhsa_user_sgpr_kernarg_segment_ptr 1
		.amdhsa_user_sgpr_dispatch_id 0
		.amdhsa_user_sgpr_kernarg_preload_length 0
		.amdhsa_user_sgpr_kernarg_preload_offset 0
		.amdhsa_user_sgpr_private_segment_size 0
		.amdhsa_uses_dynamic_stack 0
		.amdhsa_enable_private_segment 0
		.amdhsa_system_sgpr_workgroup_id_x 1
		.amdhsa_system_sgpr_workgroup_id_y 0
		.amdhsa_system_sgpr_workgroup_id_z 0
		.amdhsa_system_sgpr_workgroup_info 0
		.amdhsa_system_vgpr_workitem_id 0
		.amdhsa_next_free_vgpr 20
		.amdhsa_next_free_sgpr 18
		.amdhsa_accum_offset 20
		.amdhsa_reserve_vcc 1
		.amdhsa_float_round_mode_32 0
		.amdhsa_float_round_mode_16_64 0
		.amdhsa_float_denorm_mode_32 3
		.amdhsa_float_denorm_mode_16_64 3
		.amdhsa_dx10_clamp 1
		.amdhsa_ieee_mode 1
		.amdhsa_fp16_overflow 0
		.amdhsa_tg_split 0
		.amdhsa_exception_fp_ieee_invalid_op 0
		.amdhsa_exception_fp_denorm_src 0
		.amdhsa_exception_fp_ieee_div_zero 0
		.amdhsa_exception_fp_ieee_overflow 0
		.amdhsa_exception_fp_ieee_underflow 0
		.amdhsa_exception_fp_ieee_inexact 0
		.amdhsa_exception_int_div_zero 0
	.end_amdhsa_kernel
	.section	.text._ZN9rocsparseL18kernel_compute_cooILj1024ELj64EiiEEvT2_PKT1_S4_PKS1_21rocsparse_index_base_S4_PS1_S8_PS2_,"axG",@progbits,_ZN9rocsparseL18kernel_compute_cooILj1024ELj64EiiEEvT2_PKT1_S4_PKS1_21rocsparse_index_base_S4_PS1_S8_PS2_,comdat
.Lfunc_end79:
	.size	_ZN9rocsparseL18kernel_compute_cooILj1024ELj64EiiEEvT2_PKT1_S4_PKS1_21rocsparse_index_base_S4_PS1_S8_PS2_, .Lfunc_end79-_ZN9rocsparseL18kernel_compute_cooILj1024ELj64EiiEEvT2_PKT1_S4_PKS1_21rocsparse_index_base_S4_PS1_S8_PS2_
                                        ; -- End function
	.set _ZN9rocsparseL18kernel_compute_cooILj1024ELj64EiiEEvT2_PKT1_S4_PKS1_21rocsparse_index_base_S4_PS1_S8_PS2_.num_vgpr, 20
	.set _ZN9rocsparseL18kernel_compute_cooILj1024ELj64EiiEEvT2_PKT1_S4_PKS1_21rocsparse_index_base_S4_PS1_S8_PS2_.num_agpr, 0
	.set _ZN9rocsparseL18kernel_compute_cooILj1024ELj64EiiEEvT2_PKT1_S4_PKS1_21rocsparse_index_base_S4_PS1_S8_PS2_.numbered_sgpr, 18
	.set _ZN9rocsparseL18kernel_compute_cooILj1024ELj64EiiEEvT2_PKT1_S4_PKS1_21rocsparse_index_base_S4_PS1_S8_PS2_.num_named_barrier, 0
	.set _ZN9rocsparseL18kernel_compute_cooILj1024ELj64EiiEEvT2_PKT1_S4_PKS1_21rocsparse_index_base_S4_PS1_S8_PS2_.private_seg_size, 0
	.set _ZN9rocsparseL18kernel_compute_cooILj1024ELj64EiiEEvT2_PKT1_S4_PKS1_21rocsparse_index_base_S4_PS1_S8_PS2_.uses_vcc, 1
	.set _ZN9rocsparseL18kernel_compute_cooILj1024ELj64EiiEEvT2_PKT1_S4_PKS1_21rocsparse_index_base_S4_PS1_S8_PS2_.uses_flat_scratch, 0
	.set _ZN9rocsparseL18kernel_compute_cooILj1024ELj64EiiEEvT2_PKT1_S4_PKS1_21rocsparse_index_base_S4_PS1_S8_PS2_.has_dyn_sized_stack, 0
	.set _ZN9rocsparseL18kernel_compute_cooILj1024ELj64EiiEEvT2_PKT1_S4_PKS1_21rocsparse_index_base_S4_PS1_S8_PS2_.has_recursion, 0
	.set _ZN9rocsparseL18kernel_compute_cooILj1024ELj64EiiEEvT2_PKT1_S4_PKS1_21rocsparse_index_base_S4_PS1_S8_PS2_.has_indirect_call, 0
	.section	.AMDGPU.csdata,"",@progbits
; Kernel info:
; codeLenInByte = 592
; TotalNumSgprs: 24
; NumVgprs: 20
; NumAgprs: 0
; TotalNumVgprs: 20
; ScratchSize: 0
; MemoryBound: 0
; FloatMode: 240
; IeeeMode: 1
; LDSByteSize: 0 bytes/workgroup (compile time only)
; SGPRBlocks: 2
; VGPRBlocks: 2
; NumSGPRsForWavesPerEU: 24
; NumVGPRsForWavesPerEU: 20
; AccumOffset: 20
; Occupancy: 8
; WaveLimiterHint : 1
; COMPUTE_PGM_RSRC2:SCRATCH_EN: 0
; COMPUTE_PGM_RSRC2:USER_SGPR: 2
; COMPUTE_PGM_RSRC2:TRAP_HANDLER: 0
; COMPUTE_PGM_RSRC2:TGID_X_EN: 1
; COMPUTE_PGM_RSRC2:TGID_Y_EN: 0
; COMPUTE_PGM_RSRC2:TGID_Z_EN: 0
; COMPUTE_PGM_RSRC2:TIDIG_COMP_CNT: 0
; COMPUTE_PGM_RSRC3_GFX90A:ACCUM_OFFSET: 4
; COMPUTE_PGM_RSRC3_GFX90A:TG_SPLIT: 0
	.section	.AMDGPU.gpr_maximums,"",@progbits
	.set amdgpu.max_num_vgpr, 0
	.set amdgpu.max_num_agpr, 0
	.set amdgpu.max_num_sgpr, 0
	.section	.AMDGPU.csdata,"",@progbits
	.type	__hip_cuid_682c2194472a54ef,@object ; @__hip_cuid_682c2194472a54ef
	.section	.bss,"aw",@nobits
	.globl	__hip_cuid_682c2194472a54ef
__hip_cuid_682c2194472a54ef:
	.byte	0                               ; 0x0
	.size	__hip_cuid_682c2194472a54ef, 1

	.ident	"AMD clang version 22.0.0git (https://github.com/RadeonOpenCompute/llvm-project roc-7.2.4 26084 f58b06dce1f9c15707c5f808fd002e18c2accf7e)"
	.section	".note.GNU-stack","",@progbits
	.addrsig
	.addrsig_sym __hip_cuid_682c2194472a54ef
	.amdgpu_metadata
---
amdhsa.kernels:
  - .agpr_count:     0
    .args:
      - .offset:         0
        .size:           4
        .value_kind:     by_value
      - .offset:         4
        .size:           4
        .value_kind:     by_value
      - .actual_access:  read_only
        .address_space:  global
        .offset:         8
        .size:           8
        .value_kind:     global_buffer
      - .actual_access:  read_only
        .address_space:  global
        .offset:         16
        .size:           8
        .value_kind:     global_buffer
      - .actual_access:  read_only
        .address_space:  global
        .offset:         24
        .size:           8
        .value_kind:     global_buffer
      - .offset:         32
        .size:           4
        .value_kind:     by_value
      - .actual_access:  read_only
        .address_space:  global
        .offset:         40
        .size:           8
        .value_kind:     global_buffer
      - .actual_access:  read_only
        .address_space:  global
        .offset:         48
        .size:           8
        .value_kind:     global_buffer
      - .actual_access:  read_only
        .address_space:  global
        .offset:         56
        .size:           8
        .value_kind:     global_buffer
      - .actual_access:  read_only
        .address_space:  global
        .offset:         64
        .size:           8
        .value_kind:     global_buffer
      - .actual_access:  read_only
        .address_space:  global
        .offset:         72
        .size:           8
        .value_kind:     global_buffer
      - .actual_access:  read_only
        .address_space:  global
        .offset:         80
        .size:           8
        .value_kind:     global_buffer
      - .actual_access:  read_only
        .address_space:  global
        .offset:         88
        .size:           8
        .value_kind:     global_buffer
      - .address_space:  global
        .offset:         96
        .size:           8
        .value_kind:     global_buffer
      - .address_space:  global
        .offset:         104
        .size:           8
        .value_kind:     global_buffer
      - .address_space:  global
        .offset:         112
        .size:           8
        .value_kind:     global_buffer
    .group_segment_fixed_size: 128
    .kernarg_segment_align: 8
    .kernarg_segment_size: 120
    .language:       OpenCL C
    .language_version:
      - 2
      - 0
    .max_flat_workgroup_size: 1024
    .name:           _ZN9rocsparseL20kernel_calculate_cooILi1024ELi32ELb1EfiiEEvT4_T3_PKS1_S4_PKT2_21rocsparse_index_base_PKS2_SA_S4_SA_SA_S4_SA_PS5_PNS_15floating_traitsIS5_E6data_tEPKSE_
    .private_segment_fixed_size: 0
    .sgpr_count:     54
    .sgpr_spill_count: 0
    .symbol:         _ZN9rocsparseL20kernel_calculate_cooILi1024ELi32ELb1EfiiEEvT4_T3_PKS1_S4_PKT2_21rocsparse_index_base_PKS2_SA_S4_SA_SA_S4_SA_PS5_PNS_15floating_traitsIS5_E6data_tEPKSE_.kd
    .uniform_work_group_size: 1
    .uses_dynamic_stack: false
    .vgpr_count:     22
    .vgpr_spill_count: 0
    .wavefront_size: 64
  - .agpr_count:     0
    .args:
      - .offset:         0
        .size:           4
        .value_kind:     by_value
      - .offset:         4
        .size:           4
        .value_kind:     by_value
      - .actual_access:  read_only
        .address_space:  global
        .offset:         8
        .size:           8
        .value_kind:     global_buffer
      - .actual_access:  read_only
        .address_space:  global
        .offset:         16
        .size:           8
        .value_kind:     global_buffer
      - .actual_access:  read_only
        .address_space:  global
        .offset:         24
        .size:           8
        .value_kind:     global_buffer
      - .offset:         32
        .size:           4
        .value_kind:     by_value
      - .actual_access:  read_only
        .address_space:  global
        .offset:         40
        .size:           8
        .value_kind:     global_buffer
      - .actual_access:  read_only
        .address_space:  global
        .offset:         48
        .size:           8
        .value_kind:     global_buffer
      - .actual_access:  read_only
        .address_space:  global
        .offset:         56
        .size:           8
        .value_kind:     global_buffer
      - .actual_access:  read_only
        .address_space:  global
        .offset:         64
        .size:           8
        .value_kind:     global_buffer
      - .actual_access:  read_only
        .address_space:  global
        .offset:         72
        .size:           8
        .value_kind:     global_buffer
      - .actual_access:  read_only
        .address_space:  global
        .offset:         80
        .size:           8
        .value_kind:     global_buffer
      - .actual_access:  read_only
        .address_space:  global
        .offset:         88
        .size:           8
        .value_kind:     global_buffer
      - .address_space:  global
        .offset:         96
        .size:           8
        .value_kind:     global_buffer
      - .address_space:  global
        .offset:         104
        .size:           8
        .value_kind:     global_buffer
      - .address_space:  global
        .offset:         112
        .size:           8
        .value_kind:     global_buffer
    .group_segment_fixed_size: 64
    .kernarg_segment_align: 8
    .kernarg_segment_size: 120
    .language:       OpenCL C
    .language_version:
      - 2
      - 0
    .max_flat_workgroup_size: 1024
    .name:           _ZN9rocsparseL20kernel_calculate_cooILi1024ELi64ELb1EfiiEEvT4_T3_PKS1_S4_PKT2_21rocsparse_index_base_PKS2_SA_S4_SA_SA_S4_SA_PS5_PNS_15floating_traitsIS5_E6data_tEPKSE_
    .private_segment_fixed_size: 0
    .sgpr_count:     54
    .sgpr_spill_count: 0
    .symbol:         _ZN9rocsparseL20kernel_calculate_cooILi1024ELi64ELb1EfiiEEvT4_T3_PKS1_S4_PKT2_21rocsparse_index_base_PKS2_SA_S4_SA_SA_S4_SA_PS5_PNS_15floating_traitsIS5_E6data_tEPKSE_.kd
    .uniform_work_group_size: 1
    .uses_dynamic_stack: false
    .vgpr_count:     22
    .vgpr_spill_count: 0
    .wavefront_size: 64
  - .agpr_count:     0
    .args:
      - .offset:         0
        .size:           4
        .value_kind:     by_value
      - .offset:         4
        .size:           4
        .value_kind:     by_value
      - .actual_access:  read_only
        .address_space:  global
        .offset:         8
        .size:           8
        .value_kind:     global_buffer
      - .actual_access:  read_only
        .address_space:  global
        .offset:         16
        .size:           8
        .value_kind:     global_buffer
      - .actual_access:  read_only
        .address_space:  global
        .offset:         24
        .size:           8
        .value_kind:     global_buffer
      - .actual_access:  read_only
        .address_space:  global
        .offset:         32
        .size:           8
        .value_kind:     global_buffer
      - .offset:         40
        .size:           4
        .value_kind:     by_value
      - .actual_access:  read_only
        .address_space:  global
        .offset:         48
        .size:           8
        .value_kind:     global_buffer
      - .actual_access:  read_only
        .address_space:  global
        .offset:         56
        .size:           8
        .value_kind:     global_buffer
      - .actual_access:  read_only
        .address_space:  global
        .offset:         64
        .size:           8
        .value_kind:     global_buffer
      - .actual_access:  read_only
        .address_space:  global
        .offset:         72
        .size:           8
        .value_kind:     global_buffer
      - .actual_access:  read_only
        .address_space:  global
        .offset:         80
        .size:           8
        .value_kind:     global_buffer
      - .actual_access:  read_only
        .address_space:  global
        .offset:         88
        .size:           8
        .value_kind:     global_buffer
      - .actual_access:  read_only
        .address_space:  global
        .offset:         96
        .size:           8
        .value_kind:     global_buffer
      - .address_space:  global
        .offset:         104
        .size:           8
        .value_kind:     global_buffer
      - .address_space:  global
        .offset:         112
        .size:           8
        .value_kind:     global_buffer
      - .address_space:  global
        .offset:         120
        .size:           8
        .value_kind:     global_buffer
    .group_segment_fixed_size: 4096
    .kernarg_segment_align: 8
    .kernarg_segment_size: 128
    .language:       OpenCL C
    .language_version:
      - 2
      - 0
    .max_flat_workgroup_size: 1024
    .name:           _ZN9rocsparseL16kernel_calculateILi1024ELi1ELb1EfiiEEvT4_T3_PKS2_S4_PKS1_PKT2_21rocsparse_index_base_S4_S4_S6_S4_S4_S6_S4_PS7_PNS_15floating_traitsIS7_E6data_tEPKSE_
    .private_segment_fixed_size: 0
    .sgpr_count:     52
    .sgpr_spill_count: 0
    .symbol:         _ZN9rocsparseL16kernel_calculateILi1024ELi1ELb1EfiiEEvT4_T3_PKS2_S4_PKS1_PKT2_21rocsparse_index_base_S4_S4_S6_S4_S4_S6_S4_PS7_PNS_15floating_traitsIS7_E6data_tEPKSE_.kd
    .uniform_work_group_size: 1
    .uses_dynamic_stack: false
    .vgpr_count:     26
    .vgpr_spill_count: 0
    .wavefront_size: 64
  - .agpr_count:     0
    .args:
      - .offset:         0
        .size:           4
        .value_kind:     by_value
      - .offset:         4
        .size:           4
        .value_kind:     by_value
      - .actual_access:  read_only
        .address_space:  global
        .offset:         8
        .size:           8
        .value_kind:     global_buffer
      - .actual_access:  read_only
        .address_space:  global
        .offset:         16
        .size:           8
        .value_kind:     global_buffer
      - .actual_access:  read_only
        .address_space:  global
        .offset:         24
        .size:           8
        .value_kind:     global_buffer
      - .actual_access:  read_only
        .address_space:  global
        .offset:         32
        .size:           8
        .value_kind:     global_buffer
      - .offset:         40
        .size:           4
        .value_kind:     by_value
      - .actual_access:  read_only
        .address_space:  global
        .offset:         48
        .size:           8
        .value_kind:     global_buffer
      - .actual_access:  read_only
        .address_space:  global
        .offset:         56
        .size:           8
        .value_kind:     global_buffer
      - .actual_access:  read_only
        .address_space:  global
        .offset:         64
        .size:           8
        .value_kind:     global_buffer
      - .actual_access:  read_only
        .address_space:  global
        .offset:         72
        .size:           8
        .value_kind:     global_buffer
      - .actual_access:  read_only
        .address_space:  global
        .offset:         80
        .size:           8
        .value_kind:     global_buffer
      - .actual_access:  read_only
        .address_space:  global
        .offset:         88
        .size:           8
        .value_kind:     global_buffer
      - .actual_access:  read_only
        .address_space:  global
        .offset:         96
        .size:           8
        .value_kind:     global_buffer
      - .address_space:  global
        .offset:         104
        .size:           8
        .value_kind:     global_buffer
      - .address_space:  global
        .offset:         112
        .size:           8
        .value_kind:     global_buffer
      - .address_space:  global
        .offset:         120
        .size:           8
        .value_kind:     global_buffer
    .group_segment_fixed_size: 2048
    .kernarg_segment_align: 8
    .kernarg_segment_size: 128
    .language:       OpenCL C
    .language_version:
      - 2
      - 0
    .max_flat_workgroup_size: 1024
    .name:           _ZN9rocsparseL16kernel_calculateILi1024ELi2ELb1EfiiEEvT4_T3_PKS2_S4_PKS1_PKT2_21rocsparse_index_base_S4_S4_S6_S4_S4_S6_S4_PS7_PNS_15floating_traitsIS7_E6data_tEPKSE_
    .private_segment_fixed_size: 0
    .sgpr_count:     56
    .sgpr_spill_count: 0
    .symbol:         _ZN9rocsparseL16kernel_calculateILi1024ELi2ELb1EfiiEEvT4_T3_PKS2_S4_PKS1_PKT2_21rocsparse_index_base_S4_S4_S6_S4_S4_S6_S4_PS7_PNS_15floating_traitsIS7_E6data_tEPKSE_.kd
    .uniform_work_group_size: 1
    .uses_dynamic_stack: false
    .vgpr_count:     34
    .vgpr_spill_count: 0
    .wavefront_size: 64
  - .agpr_count:     0
    .args:
      - .offset:         0
        .size:           4
        .value_kind:     by_value
      - .offset:         4
        .size:           4
        .value_kind:     by_value
      - .actual_access:  read_only
        .address_space:  global
        .offset:         8
        .size:           8
        .value_kind:     global_buffer
      - .actual_access:  read_only
        .address_space:  global
        .offset:         16
        .size:           8
        .value_kind:     global_buffer
      - .actual_access:  read_only
        .address_space:  global
        .offset:         24
        .size:           8
        .value_kind:     global_buffer
      - .actual_access:  read_only
        .address_space:  global
        .offset:         32
        .size:           8
        .value_kind:     global_buffer
      - .offset:         40
        .size:           4
        .value_kind:     by_value
      - .actual_access:  read_only
        .address_space:  global
        .offset:         48
        .size:           8
        .value_kind:     global_buffer
      - .actual_access:  read_only
        .address_space:  global
        .offset:         56
        .size:           8
        .value_kind:     global_buffer
      - .actual_access:  read_only
        .address_space:  global
        .offset:         64
        .size:           8
        .value_kind:     global_buffer
      - .actual_access:  read_only
        .address_space:  global
        .offset:         72
        .size:           8
        .value_kind:     global_buffer
      - .actual_access:  read_only
        .address_space:  global
        .offset:         80
        .size:           8
        .value_kind:     global_buffer
      - .actual_access:  read_only
        .address_space:  global
        .offset:         88
        .size:           8
        .value_kind:     global_buffer
      - .actual_access:  read_only
        .address_space:  global
        .offset:         96
        .size:           8
        .value_kind:     global_buffer
      - .address_space:  global
        .offset:         104
        .size:           8
        .value_kind:     global_buffer
      - .address_space:  global
        .offset:         112
        .size:           8
        .value_kind:     global_buffer
      - .address_space:  global
        .offset:         120
        .size:           8
        .value_kind:     global_buffer
    .group_segment_fixed_size: 1024
    .kernarg_segment_align: 8
    .kernarg_segment_size: 128
    .language:       OpenCL C
    .language_version:
      - 2
      - 0
    .max_flat_workgroup_size: 1024
    .name:           _ZN9rocsparseL16kernel_calculateILi1024ELi4ELb1EfiiEEvT4_T3_PKS2_S4_PKS1_PKT2_21rocsparse_index_base_S4_S4_S6_S4_S4_S6_S4_PS7_PNS_15floating_traitsIS7_E6data_tEPKSE_
    .private_segment_fixed_size: 0
    .sgpr_count:     62
    .sgpr_spill_count: 0
    .symbol:         _ZN9rocsparseL16kernel_calculateILi1024ELi4ELb1EfiiEEvT4_T3_PKS2_S4_PKS1_PKT2_21rocsparse_index_base_S4_S4_S6_S4_S4_S6_S4_PS7_PNS_15floating_traitsIS7_E6data_tEPKSE_.kd
    .uniform_work_group_size: 1
    .uses_dynamic_stack: false
    .vgpr_count:     30
    .vgpr_spill_count: 0
    .wavefront_size: 64
  - .agpr_count:     0
    .args:
      - .offset:         0
        .size:           4
        .value_kind:     by_value
      - .offset:         4
        .size:           4
        .value_kind:     by_value
      - .actual_access:  read_only
        .address_space:  global
        .offset:         8
        .size:           8
        .value_kind:     global_buffer
      - .actual_access:  read_only
        .address_space:  global
        .offset:         16
        .size:           8
        .value_kind:     global_buffer
      - .actual_access:  read_only
        .address_space:  global
        .offset:         24
        .size:           8
        .value_kind:     global_buffer
      - .actual_access:  read_only
        .address_space:  global
        .offset:         32
        .size:           8
        .value_kind:     global_buffer
      - .offset:         40
        .size:           4
        .value_kind:     by_value
      - .actual_access:  read_only
        .address_space:  global
        .offset:         48
        .size:           8
        .value_kind:     global_buffer
      - .actual_access:  read_only
        .address_space:  global
        .offset:         56
        .size:           8
        .value_kind:     global_buffer
      - .actual_access:  read_only
        .address_space:  global
        .offset:         64
        .size:           8
        .value_kind:     global_buffer
      - .actual_access:  read_only
        .address_space:  global
        .offset:         72
        .size:           8
        .value_kind:     global_buffer
      - .actual_access:  read_only
        .address_space:  global
        .offset:         80
        .size:           8
        .value_kind:     global_buffer
      - .actual_access:  read_only
        .address_space:  global
        .offset:         88
        .size:           8
        .value_kind:     global_buffer
      - .actual_access:  read_only
        .address_space:  global
        .offset:         96
        .size:           8
        .value_kind:     global_buffer
      - .address_space:  global
        .offset:         104
        .size:           8
        .value_kind:     global_buffer
      - .address_space:  global
        .offset:         112
        .size:           8
        .value_kind:     global_buffer
      - .address_space:  global
        .offset:         120
        .size:           8
        .value_kind:     global_buffer
    .group_segment_fixed_size: 512
    .kernarg_segment_align: 8
    .kernarg_segment_size: 128
    .language:       OpenCL C
    .language_version:
      - 2
      - 0
    .max_flat_workgroup_size: 1024
    .name:           _ZN9rocsparseL16kernel_calculateILi1024ELi8ELb1EfiiEEvT4_T3_PKS2_S4_PKS1_PKT2_21rocsparse_index_base_S4_S4_S6_S4_S4_S6_S4_PS7_PNS_15floating_traitsIS7_E6data_tEPKSE_
    .private_segment_fixed_size: 0
    .sgpr_count:     62
    .sgpr_spill_count: 0
    .symbol:         _ZN9rocsparseL16kernel_calculateILi1024ELi8ELb1EfiiEEvT4_T3_PKS2_S4_PKS1_PKT2_21rocsparse_index_base_S4_S4_S6_S4_S4_S6_S4_PS7_PNS_15floating_traitsIS7_E6data_tEPKSE_.kd
    .uniform_work_group_size: 1
    .uses_dynamic_stack: false
    .vgpr_count:     30
    .vgpr_spill_count: 0
    .wavefront_size: 64
  - .agpr_count:     0
    .args:
      - .offset:         0
        .size:           4
        .value_kind:     by_value
      - .offset:         4
        .size:           4
        .value_kind:     by_value
      - .actual_access:  read_only
        .address_space:  global
        .offset:         8
        .size:           8
        .value_kind:     global_buffer
      - .actual_access:  read_only
        .address_space:  global
        .offset:         16
        .size:           8
        .value_kind:     global_buffer
      - .actual_access:  read_only
        .address_space:  global
        .offset:         24
        .size:           8
        .value_kind:     global_buffer
      - .actual_access:  read_only
        .address_space:  global
        .offset:         32
        .size:           8
        .value_kind:     global_buffer
      - .offset:         40
        .size:           4
        .value_kind:     by_value
      - .actual_access:  read_only
        .address_space:  global
        .offset:         48
        .size:           8
        .value_kind:     global_buffer
      - .actual_access:  read_only
        .address_space:  global
        .offset:         56
        .size:           8
        .value_kind:     global_buffer
      - .actual_access:  read_only
        .address_space:  global
        .offset:         64
        .size:           8
        .value_kind:     global_buffer
      - .actual_access:  read_only
        .address_space:  global
        .offset:         72
        .size:           8
        .value_kind:     global_buffer
      - .actual_access:  read_only
        .address_space:  global
        .offset:         80
        .size:           8
        .value_kind:     global_buffer
      - .actual_access:  read_only
        .address_space:  global
        .offset:         88
        .size:           8
        .value_kind:     global_buffer
      - .actual_access:  read_only
        .address_space:  global
        .offset:         96
        .size:           8
        .value_kind:     global_buffer
      - .address_space:  global
        .offset:         104
        .size:           8
        .value_kind:     global_buffer
      - .address_space:  global
        .offset:         112
        .size:           8
        .value_kind:     global_buffer
      - .address_space:  global
        .offset:         120
        .size:           8
        .value_kind:     global_buffer
    .group_segment_fixed_size: 256
    .kernarg_segment_align: 8
    .kernarg_segment_size: 128
    .language:       OpenCL C
    .language_version:
      - 2
      - 0
    .max_flat_workgroup_size: 1024
    .name:           _ZN9rocsparseL16kernel_calculateILi1024ELi16ELb1EfiiEEvT4_T3_PKS2_S4_PKS1_PKT2_21rocsparse_index_base_S4_S4_S6_S4_S4_S6_S4_PS7_PNS_15floating_traitsIS7_E6data_tEPKSE_
    .private_segment_fixed_size: 0
    .sgpr_count:     62
    .sgpr_spill_count: 0
    .symbol:         _ZN9rocsparseL16kernel_calculateILi1024ELi16ELb1EfiiEEvT4_T3_PKS2_S4_PKS1_PKT2_21rocsparse_index_base_S4_S4_S6_S4_S4_S6_S4_PS7_PNS_15floating_traitsIS7_E6data_tEPKSE_.kd
    .uniform_work_group_size: 1
    .uses_dynamic_stack: false
    .vgpr_count:     30
    .vgpr_spill_count: 0
    .wavefront_size: 64
  - .agpr_count:     0
    .args:
      - .offset:         0
        .size:           4
        .value_kind:     by_value
      - .offset:         4
        .size:           4
        .value_kind:     by_value
      - .actual_access:  read_only
        .address_space:  global
        .offset:         8
        .size:           8
        .value_kind:     global_buffer
      - .actual_access:  read_only
        .address_space:  global
        .offset:         16
        .size:           8
        .value_kind:     global_buffer
      - .actual_access:  read_only
        .address_space:  global
        .offset:         24
        .size:           8
        .value_kind:     global_buffer
      - .actual_access:  read_only
        .address_space:  global
        .offset:         32
        .size:           8
        .value_kind:     global_buffer
      - .offset:         40
        .size:           4
        .value_kind:     by_value
      - .actual_access:  read_only
        .address_space:  global
        .offset:         48
        .size:           8
        .value_kind:     global_buffer
      - .actual_access:  read_only
        .address_space:  global
        .offset:         56
        .size:           8
        .value_kind:     global_buffer
      - .actual_access:  read_only
        .address_space:  global
        .offset:         64
        .size:           8
        .value_kind:     global_buffer
      - .actual_access:  read_only
        .address_space:  global
        .offset:         72
        .size:           8
        .value_kind:     global_buffer
      - .actual_access:  read_only
        .address_space:  global
        .offset:         80
        .size:           8
        .value_kind:     global_buffer
      - .actual_access:  read_only
        .address_space:  global
        .offset:         88
        .size:           8
        .value_kind:     global_buffer
      - .actual_access:  read_only
        .address_space:  global
        .offset:         96
        .size:           8
        .value_kind:     global_buffer
      - .address_space:  global
        .offset:         104
        .size:           8
        .value_kind:     global_buffer
      - .address_space:  global
        .offset:         112
        .size:           8
        .value_kind:     global_buffer
      - .address_space:  global
        .offset:         120
        .size:           8
        .value_kind:     global_buffer
    .group_segment_fixed_size: 128
    .kernarg_segment_align: 8
    .kernarg_segment_size: 128
    .language:       OpenCL C
    .language_version:
      - 2
      - 0
    .max_flat_workgroup_size: 1024
    .name:           _ZN9rocsparseL16kernel_calculateILi1024ELi32ELb1EfiiEEvT4_T3_PKS2_S4_PKS1_PKT2_21rocsparse_index_base_S4_S4_S6_S4_S4_S6_S4_PS7_PNS_15floating_traitsIS7_E6data_tEPKSE_
    .private_segment_fixed_size: 0
    .sgpr_count:     62
    .sgpr_spill_count: 0
    .symbol:         _ZN9rocsparseL16kernel_calculateILi1024ELi32ELb1EfiiEEvT4_T3_PKS2_S4_PKS1_PKT2_21rocsparse_index_base_S4_S4_S6_S4_S4_S6_S4_PS7_PNS_15floating_traitsIS7_E6data_tEPKSE_.kd
    .uniform_work_group_size: 1
    .uses_dynamic_stack: false
    .vgpr_count:     30
    .vgpr_spill_count: 0
    .wavefront_size: 64
  - .agpr_count:     0
    .args:
      - .offset:         0
        .size:           4
        .value_kind:     by_value
      - .offset:         4
        .size:           4
        .value_kind:     by_value
      - .actual_access:  read_only
        .address_space:  global
        .offset:         8
        .size:           8
        .value_kind:     global_buffer
      - .actual_access:  read_only
        .address_space:  global
        .offset:         16
        .size:           8
        .value_kind:     global_buffer
      - .actual_access:  read_only
        .address_space:  global
        .offset:         24
        .size:           8
        .value_kind:     global_buffer
      - .actual_access:  read_only
        .address_space:  global
        .offset:         32
        .size:           8
        .value_kind:     global_buffer
      - .offset:         40
        .size:           4
        .value_kind:     by_value
      - .actual_access:  read_only
        .address_space:  global
        .offset:         48
        .size:           8
        .value_kind:     global_buffer
      - .actual_access:  read_only
        .address_space:  global
        .offset:         56
        .size:           8
        .value_kind:     global_buffer
      - .actual_access:  read_only
        .address_space:  global
        .offset:         64
        .size:           8
        .value_kind:     global_buffer
      - .actual_access:  read_only
        .address_space:  global
        .offset:         72
        .size:           8
        .value_kind:     global_buffer
      - .actual_access:  read_only
        .address_space:  global
        .offset:         80
        .size:           8
        .value_kind:     global_buffer
      - .actual_access:  read_only
        .address_space:  global
        .offset:         88
        .size:           8
        .value_kind:     global_buffer
      - .actual_access:  read_only
        .address_space:  global
        .offset:         96
        .size:           8
        .value_kind:     global_buffer
      - .address_space:  global
        .offset:         104
        .size:           8
        .value_kind:     global_buffer
      - .address_space:  global
        .offset:         112
        .size:           8
        .value_kind:     global_buffer
      - .address_space:  global
        .offset:         120
        .size:           8
        .value_kind:     global_buffer
    .group_segment_fixed_size: 64
    .kernarg_segment_align: 8
    .kernarg_segment_size: 128
    .language:       OpenCL C
    .language_version:
      - 2
      - 0
    .max_flat_workgroup_size: 1024
    .name:           _ZN9rocsparseL16kernel_calculateILi1024ELi64ELb1EfiiEEvT4_T3_PKS2_S4_PKS1_PKT2_21rocsparse_index_base_S4_S4_S6_S4_S4_S6_S4_PS7_PNS_15floating_traitsIS7_E6data_tEPKSE_
    .private_segment_fixed_size: 0
    .sgpr_count:     62
    .sgpr_spill_count: 0
    .symbol:         _ZN9rocsparseL16kernel_calculateILi1024ELi64ELb1EfiiEEvT4_T3_PKS2_S4_PKS1_PKT2_21rocsparse_index_base_S4_S4_S6_S4_S4_S6_S4_PS7_PNS_15floating_traitsIS7_E6data_tEPKSE_.kd
    .uniform_work_group_size: 1
    .uses_dynamic_stack: false
    .vgpr_count:     30
    .vgpr_spill_count: 0
    .wavefront_size: 64
  - .agpr_count:     0
    .args:
      - .offset:         0
        .size:           4
        .value_kind:     by_value
      - .offset:         4
        .size:           4
        .value_kind:     by_value
      - .actual_access:  read_only
        .address_space:  global
        .offset:         8
        .size:           8
        .value_kind:     global_buffer
      - .actual_access:  read_only
        .address_space:  global
        .offset:         16
        .size:           8
        .value_kind:     global_buffer
      - .actual_access:  read_only
        .address_space:  global
        .offset:         24
        .size:           8
        .value_kind:     global_buffer
      - .actual_access:  read_only
        .address_space:  global
        .offset:         32
        .size:           8
        .value_kind:     global_buffer
      - .offset:         40
        .size:           4
        .value_kind:     by_value
      - .actual_access:  read_only
        .address_space:  global
        .offset:         48
        .size:           8
        .value_kind:     global_buffer
      - .actual_access:  read_only
        .address_space:  global
        .offset:         56
        .size:           8
        .value_kind:     global_buffer
      - .actual_access:  read_only
        .address_space:  global
        .offset:         64
        .size:           8
        .value_kind:     global_buffer
      - .actual_access:  read_only
        .address_space:  global
        .offset:         72
        .size:           8
        .value_kind:     global_buffer
      - .actual_access:  read_only
        .address_space:  global
        .offset:         80
        .size:           8
        .value_kind:     global_buffer
      - .actual_access:  read_only
        .address_space:  global
        .offset:         88
        .size:           8
        .value_kind:     global_buffer
      - .actual_access:  read_only
        .address_space:  global
        .offset:         96
        .size:           8
        .value_kind:     global_buffer
      - .address_space:  global
        .offset:         104
        .size:           8
        .value_kind:     global_buffer
      - .address_space:  global
        .offset:         112
        .size:           8
        .value_kind:     global_buffer
      - .address_space:  global
        .offset:         120
        .size:           8
        .value_kind:     global_buffer
    .group_segment_fixed_size: 0
    .kernarg_segment_align: 8
    .kernarg_segment_size: 128
    .language:       OpenCL C
    .language_version:
      - 2
      - 0
    .max_flat_workgroup_size: 1024
    .name:           _ZN9rocsparseL16kernel_calculateILi1024ELi1ELb0EfiiEEvT4_T3_PKS2_S4_PKS1_PKT2_21rocsparse_index_base_S4_S4_S6_S4_S4_S6_S4_PS7_PNS_15floating_traitsIS7_E6data_tEPKSE_
    .private_segment_fixed_size: 0
    .sgpr_count:     36
    .sgpr_spill_count: 0
    .symbol:         _ZN9rocsparseL16kernel_calculateILi1024ELi1ELb0EfiiEEvT4_T3_PKS2_S4_PKS1_PKT2_21rocsparse_index_base_S4_S4_S6_S4_S4_S6_S4_PS7_PNS_15floating_traitsIS7_E6data_tEPKSE_.kd
    .uniform_work_group_size: 1
    .uses_dynamic_stack: false
    .vgpr_count:     22
    .vgpr_spill_count: 0
    .wavefront_size: 64
  - .agpr_count:     0
    .args:
      - .offset:         0
        .size:           4
        .value_kind:     by_value
      - .offset:         4
        .size:           4
        .value_kind:     by_value
      - .actual_access:  read_only
        .address_space:  global
        .offset:         8
        .size:           8
        .value_kind:     global_buffer
      - .actual_access:  read_only
        .address_space:  global
        .offset:         16
        .size:           8
        .value_kind:     global_buffer
      - .actual_access:  read_only
        .address_space:  global
        .offset:         24
        .size:           8
        .value_kind:     global_buffer
      - .actual_access:  read_only
        .address_space:  global
        .offset:         32
        .size:           8
        .value_kind:     global_buffer
      - .offset:         40
        .size:           4
        .value_kind:     by_value
      - .actual_access:  read_only
        .address_space:  global
        .offset:         48
        .size:           8
        .value_kind:     global_buffer
      - .actual_access:  read_only
        .address_space:  global
        .offset:         56
        .size:           8
        .value_kind:     global_buffer
      - .actual_access:  read_only
        .address_space:  global
        .offset:         64
        .size:           8
        .value_kind:     global_buffer
      - .actual_access:  read_only
        .address_space:  global
        .offset:         72
        .size:           8
        .value_kind:     global_buffer
      - .actual_access:  read_only
        .address_space:  global
        .offset:         80
        .size:           8
        .value_kind:     global_buffer
      - .actual_access:  read_only
        .address_space:  global
        .offset:         88
        .size:           8
        .value_kind:     global_buffer
      - .actual_access:  read_only
        .address_space:  global
        .offset:         96
        .size:           8
        .value_kind:     global_buffer
      - .address_space:  global
        .offset:         104
        .size:           8
        .value_kind:     global_buffer
      - .address_space:  global
        .offset:         112
        .size:           8
        .value_kind:     global_buffer
      - .address_space:  global
        .offset:         120
        .size:           8
        .value_kind:     global_buffer
    .group_segment_fixed_size: 0
    .kernarg_segment_align: 8
    .kernarg_segment_size: 128
    .language:       OpenCL C
    .language_version:
      - 2
      - 0
    .max_flat_workgroup_size: 1024
    .name:           _ZN9rocsparseL16kernel_calculateILi1024ELi2ELb0EfiiEEvT4_T3_PKS2_S4_PKS1_PKT2_21rocsparse_index_base_S4_S4_S6_S4_S4_S6_S4_PS7_PNS_15floating_traitsIS7_E6data_tEPKSE_
    .private_segment_fixed_size: 0
    .sgpr_count:     42
    .sgpr_spill_count: 0
    .symbol:         _ZN9rocsparseL16kernel_calculateILi1024ELi2ELb0EfiiEEvT4_T3_PKS2_S4_PKS1_PKT2_21rocsparse_index_base_S4_S4_S6_S4_S4_S6_S4_PS7_PNS_15floating_traitsIS7_E6data_tEPKSE_.kd
    .uniform_work_group_size: 1
    .uses_dynamic_stack: false
    .vgpr_count:     28
    .vgpr_spill_count: 0
    .wavefront_size: 64
  - .agpr_count:     0
    .args:
      - .offset:         0
        .size:           4
        .value_kind:     by_value
      - .offset:         4
        .size:           4
        .value_kind:     by_value
      - .actual_access:  read_only
        .address_space:  global
        .offset:         8
        .size:           8
        .value_kind:     global_buffer
      - .actual_access:  read_only
        .address_space:  global
        .offset:         16
        .size:           8
        .value_kind:     global_buffer
      - .actual_access:  read_only
        .address_space:  global
        .offset:         24
        .size:           8
        .value_kind:     global_buffer
      - .actual_access:  read_only
        .address_space:  global
        .offset:         32
        .size:           8
        .value_kind:     global_buffer
      - .offset:         40
        .size:           4
        .value_kind:     by_value
      - .actual_access:  read_only
        .address_space:  global
        .offset:         48
        .size:           8
        .value_kind:     global_buffer
      - .actual_access:  read_only
        .address_space:  global
        .offset:         56
        .size:           8
        .value_kind:     global_buffer
      - .actual_access:  read_only
        .address_space:  global
        .offset:         64
        .size:           8
        .value_kind:     global_buffer
      - .actual_access:  read_only
        .address_space:  global
        .offset:         72
        .size:           8
        .value_kind:     global_buffer
      - .actual_access:  read_only
        .address_space:  global
        .offset:         80
        .size:           8
        .value_kind:     global_buffer
      - .actual_access:  read_only
        .address_space:  global
        .offset:         88
        .size:           8
        .value_kind:     global_buffer
      - .actual_access:  read_only
        .address_space:  global
        .offset:         96
        .size:           8
        .value_kind:     global_buffer
      - .address_space:  global
        .offset:         104
        .size:           8
        .value_kind:     global_buffer
      - .address_space:  global
        .offset:         112
        .size:           8
        .value_kind:     global_buffer
      - .address_space:  global
        .offset:         120
        .size:           8
        .value_kind:     global_buffer
    .group_segment_fixed_size: 0
    .kernarg_segment_align: 8
    .kernarg_segment_size: 128
    .language:       OpenCL C
    .language_version:
      - 2
      - 0
    .max_flat_workgroup_size: 1024
    .name:           _ZN9rocsparseL16kernel_calculateILi1024ELi4ELb0EfiiEEvT4_T3_PKS2_S4_PKS1_PKT2_21rocsparse_index_base_S4_S4_S6_S4_S4_S6_S4_PS7_PNS_15floating_traitsIS7_E6data_tEPKSE_
    .private_segment_fixed_size: 0
    .sgpr_count:     47
    .sgpr_spill_count: 0
    .symbol:         _ZN9rocsparseL16kernel_calculateILi1024ELi4ELb0EfiiEEvT4_T3_PKS2_S4_PKS1_PKT2_21rocsparse_index_base_S4_S4_S6_S4_S4_S6_S4_PS7_PNS_15floating_traitsIS7_E6data_tEPKSE_.kd
    .uniform_work_group_size: 1
    .uses_dynamic_stack: false
    .vgpr_count:     24
    .vgpr_spill_count: 0
    .wavefront_size: 64
  - .agpr_count:     0
    .args:
      - .offset:         0
        .size:           4
        .value_kind:     by_value
      - .offset:         4
        .size:           4
        .value_kind:     by_value
      - .actual_access:  read_only
        .address_space:  global
        .offset:         8
        .size:           8
        .value_kind:     global_buffer
      - .actual_access:  read_only
        .address_space:  global
        .offset:         16
        .size:           8
        .value_kind:     global_buffer
      - .actual_access:  read_only
        .address_space:  global
        .offset:         24
        .size:           8
        .value_kind:     global_buffer
      - .actual_access:  read_only
        .address_space:  global
        .offset:         32
        .size:           8
        .value_kind:     global_buffer
      - .offset:         40
        .size:           4
        .value_kind:     by_value
      - .actual_access:  read_only
        .address_space:  global
        .offset:         48
        .size:           8
        .value_kind:     global_buffer
      - .actual_access:  read_only
        .address_space:  global
        .offset:         56
        .size:           8
        .value_kind:     global_buffer
      - .actual_access:  read_only
        .address_space:  global
        .offset:         64
        .size:           8
        .value_kind:     global_buffer
      - .actual_access:  read_only
        .address_space:  global
        .offset:         72
        .size:           8
        .value_kind:     global_buffer
      - .actual_access:  read_only
        .address_space:  global
        .offset:         80
        .size:           8
        .value_kind:     global_buffer
      - .actual_access:  read_only
        .address_space:  global
        .offset:         88
        .size:           8
        .value_kind:     global_buffer
      - .actual_access:  read_only
        .address_space:  global
        .offset:         96
        .size:           8
        .value_kind:     global_buffer
      - .address_space:  global
        .offset:         104
        .size:           8
        .value_kind:     global_buffer
      - .address_space:  global
        .offset:         112
        .size:           8
        .value_kind:     global_buffer
      - .address_space:  global
        .offset:         120
        .size:           8
        .value_kind:     global_buffer
    .group_segment_fixed_size: 0
    .kernarg_segment_align: 8
    .kernarg_segment_size: 128
    .language:       OpenCL C
    .language_version:
      - 2
      - 0
    .max_flat_workgroup_size: 1024
    .name:           _ZN9rocsparseL16kernel_calculateILi1024ELi8ELb0EfiiEEvT4_T3_PKS2_S4_PKS1_PKT2_21rocsparse_index_base_S4_S4_S6_S4_S4_S6_S4_PS7_PNS_15floating_traitsIS7_E6data_tEPKSE_
    .private_segment_fixed_size: 0
    .sgpr_count:     47
    .sgpr_spill_count: 0
    .symbol:         _ZN9rocsparseL16kernel_calculateILi1024ELi8ELb0EfiiEEvT4_T3_PKS2_S4_PKS1_PKT2_21rocsparse_index_base_S4_S4_S6_S4_S4_S6_S4_PS7_PNS_15floating_traitsIS7_E6data_tEPKSE_.kd
    .uniform_work_group_size: 1
    .uses_dynamic_stack: false
    .vgpr_count:     24
    .vgpr_spill_count: 0
    .wavefront_size: 64
  - .agpr_count:     0
    .args:
      - .offset:         0
        .size:           4
        .value_kind:     by_value
      - .offset:         4
        .size:           4
        .value_kind:     by_value
      - .actual_access:  read_only
        .address_space:  global
        .offset:         8
        .size:           8
        .value_kind:     global_buffer
      - .actual_access:  read_only
        .address_space:  global
        .offset:         16
        .size:           8
        .value_kind:     global_buffer
      - .actual_access:  read_only
        .address_space:  global
        .offset:         24
        .size:           8
        .value_kind:     global_buffer
      - .actual_access:  read_only
        .address_space:  global
        .offset:         32
        .size:           8
        .value_kind:     global_buffer
      - .offset:         40
        .size:           4
        .value_kind:     by_value
      - .actual_access:  read_only
        .address_space:  global
        .offset:         48
        .size:           8
        .value_kind:     global_buffer
      - .actual_access:  read_only
        .address_space:  global
        .offset:         56
        .size:           8
        .value_kind:     global_buffer
      - .actual_access:  read_only
        .address_space:  global
        .offset:         64
        .size:           8
        .value_kind:     global_buffer
      - .actual_access:  read_only
        .address_space:  global
        .offset:         72
        .size:           8
        .value_kind:     global_buffer
      - .actual_access:  read_only
        .address_space:  global
        .offset:         80
        .size:           8
        .value_kind:     global_buffer
      - .actual_access:  read_only
        .address_space:  global
        .offset:         88
        .size:           8
        .value_kind:     global_buffer
      - .actual_access:  read_only
        .address_space:  global
        .offset:         96
        .size:           8
        .value_kind:     global_buffer
      - .address_space:  global
        .offset:         104
        .size:           8
        .value_kind:     global_buffer
      - .address_space:  global
        .offset:         112
        .size:           8
        .value_kind:     global_buffer
      - .address_space:  global
        .offset:         120
        .size:           8
        .value_kind:     global_buffer
    .group_segment_fixed_size: 0
    .kernarg_segment_align: 8
    .kernarg_segment_size: 128
    .language:       OpenCL C
    .language_version:
      - 2
      - 0
    .max_flat_workgroup_size: 1024
    .name:           _ZN9rocsparseL16kernel_calculateILi1024ELi16ELb0EfiiEEvT4_T3_PKS2_S4_PKS1_PKT2_21rocsparse_index_base_S4_S4_S6_S4_S4_S6_S4_PS7_PNS_15floating_traitsIS7_E6data_tEPKSE_
    .private_segment_fixed_size: 0
    .sgpr_count:     47
    .sgpr_spill_count: 0
    .symbol:         _ZN9rocsparseL16kernel_calculateILi1024ELi16ELb0EfiiEEvT4_T3_PKS2_S4_PKS1_PKT2_21rocsparse_index_base_S4_S4_S6_S4_S4_S6_S4_PS7_PNS_15floating_traitsIS7_E6data_tEPKSE_.kd
    .uniform_work_group_size: 1
    .uses_dynamic_stack: false
    .vgpr_count:     24
    .vgpr_spill_count: 0
    .wavefront_size: 64
  - .agpr_count:     0
    .args:
      - .offset:         0
        .size:           4
        .value_kind:     by_value
      - .offset:         4
        .size:           4
        .value_kind:     by_value
      - .actual_access:  read_only
        .address_space:  global
        .offset:         8
        .size:           8
        .value_kind:     global_buffer
      - .actual_access:  read_only
        .address_space:  global
        .offset:         16
        .size:           8
        .value_kind:     global_buffer
      - .actual_access:  read_only
        .address_space:  global
        .offset:         24
        .size:           8
        .value_kind:     global_buffer
      - .actual_access:  read_only
        .address_space:  global
        .offset:         32
        .size:           8
        .value_kind:     global_buffer
      - .offset:         40
        .size:           4
        .value_kind:     by_value
      - .actual_access:  read_only
        .address_space:  global
        .offset:         48
        .size:           8
        .value_kind:     global_buffer
      - .actual_access:  read_only
        .address_space:  global
        .offset:         56
        .size:           8
        .value_kind:     global_buffer
      - .actual_access:  read_only
        .address_space:  global
        .offset:         64
        .size:           8
        .value_kind:     global_buffer
      - .actual_access:  read_only
        .address_space:  global
        .offset:         72
        .size:           8
        .value_kind:     global_buffer
      - .actual_access:  read_only
        .address_space:  global
        .offset:         80
        .size:           8
        .value_kind:     global_buffer
      - .actual_access:  read_only
        .address_space:  global
        .offset:         88
        .size:           8
        .value_kind:     global_buffer
      - .actual_access:  read_only
        .address_space:  global
        .offset:         96
        .size:           8
        .value_kind:     global_buffer
      - .address_space:  global
        .offset:         104
        .size:           8
        .value_kind:     global_buffer
      - .address_space:  global
        .offset:         112
        .size:           8
        .value_kind:     global_buffer
      - .address_space:  global
        .offset:         120
        .size:           8
        .value_kind:     global_buffer
    .group_segment_fixed_size: 0
    .kernarg_segment_align: 8
    .kernarg_segment_size: 128
    .language:       OpenCL C
    .language_version:
      - 2
      - 0
    .max_flat_workgroup_size: 1024
    .name:           _ZN9rocsparseL16kernel_calculateILi1024ELi32ELb0EfiiEEvT4_T3_PKS2_S4_PKS1_PKT2_21rocsparse_index_base_S4_S4_S6_S4_S4_S6_S4_PS7_PNS_15floating_traitsIS7_E6data_tEPKSE_
    .private_segment_fixed_size: 0
    .sgpr_count:     47
    .sgpr_spill_count: 0
    .symbol:         _ZN9rocsparseL16kernel_calculateILi1024ELi32ELb0EfiiEEvT4_T3_PKS2_S4_PKS1_PKT2_21rocsparse_index_base_S4_S4_S6_S4_S4_S6_S4_PS7_PNS_15floating_traitsIS7_E6data_tEPKSE_.kd
    .uniform_work_group_size: 1
    .uses_dynamic_stack: false
    .vgpr_count:     24
    .vgpr_spill_count: 0
    .wavefront_size: 64
  - .agpr_count:     0
    .args:
      - .offset:         0
        .size:           4
        .value_kind:     by_value
      - .offset:         4
        .size:           4
        .value_kind:     by_value
      - .actual_access:  read_only
        .address_space:  global
        .offset:         8
        .size:           8
        .value_kind:     global_buffer
      - .actual_access:  read_only
        .address_space:  global
        .offset:         16
        .size:           8
        .value_kind:     global_buffer
      - .actual_access:  read_only
        .address_space:  global
        .offset:         24
        .size:           8
        .value_kind:     global_buffer
      - .actual_access:  read_only
        .address_space:  global
        .offset:         32
        .size:           8
        .value_kind:     global_buffer
      - .offset:         40
        .size:           4
        .value_kind:     by_value
      - .actual_access:  read_only
        .address_space:  global
        .offset:         48
        .size:           8
        .value_kind:     global_buffer
      - .actual_access:  read_only
        .address_space:  global
        .offset:         56
        .size:           8
        .value_kind:     global_buffer
      - .actual_access:  read_only
        .address_space:  global
        .offset:         64
        .size:           8
        .value_kind:     global_buffer
      - .actual_access:  read_only
        .address_space:  global
        .offset:         72
        .size:           8
        .value_kind:     global_buffer
      - .actual_access:  read_only
        .address_space:  global
        .offset:         80
        .size:           8
        .value_kind:     global_buffer
      - .actual_access:  read_only
        .address_space:  global
        .offset:         88
        .size:           8
        .value_kind:     global_buffer
      - .actual_access:  read_only
        .address_space:  global
        .offset:         96
        .size:           8
        .value_kind:     global_buffer
      - .address_space:  global
        .offset:         104
        .size:           8
        .value_kind:     global_buffer
      - .address_space:  global
        .offset:         112
        .size:           8
        .value_kind:     global_buffer
      - .address_space:  global
        .offset:         120
        .size:           8
        .value_kind:     global_buffer
    .group_segment_fixed_size: 0
    .kernarg_segment_align: 8
    .kernarg_segment_size: 128
    .language:       OpenCL C
    .language_version:
      - 2
      - 0
    .max_flat_workgroup_size: 1024
    .name:           _ZN9rocsparseL16kernel_calculateILi1024ELi64ELb0EfiiEEvT4_T3_PKS2_S4_PKS1_PKT2_21rocsparse_index_base_S4_S4_S6_S4_S4_S6_S4_PS7_PNS_15floating_traitsIS7_E6data_tEPKSE_
    .private_segment_fixed_size: 0
    .sgpr_count:     47
    .sgpr_spill_count: 0
    .symbol:         _ZN9rocsparseL16kernel_calculateILi1024ELi64ELb0EfiiEEvT4_T3_PKS2_S4_PKS1_PKT2_21rocsparse_index_base_S4_S4_S6_S4_S4_S6_S4_PS7_PNS_15floating_traitsIS7_E6data_tEPKSE_.kd
    .uniform_work_group_size: 1
    .uses_dynamic_stack: false
    .vgpr_count:     24
    .vgpr_spill_count: 0
    .wavefront_size: 64
  - .agpr_count:     0
    .args:
      - .offset:         0
        .size:           4
        .value_kind:     by_value
      - .offset:         4
        .size:           4
        .value_kind:     by_value
      - .actual_access:  read_only
        .address_space:  global
        .offset:         8
        .size:           8
        .value_kind:     global_buffer
      - .actual_access:  read_only
        .address_space:  global
        .offset:         16
        .size:           8
        .value_kind:     global_buffer
      - .actual_access:  read_only
        .address_space:  global
        .offset:         24
        .size:           8
        .value_kind:     global_buffer
      - .offset:         32
        .size:           4
        .value_kind:     by_value
      - .actual_access:  read_only
        .address_space:  global
        .offset:         40
        .size:           8
        .value_kind:     global_buffer
      - .actual_access:  read_only
        .address_space:  global
        .offset:         48
        .size:           8
        .value_kind:     global_buffer
      - .actual_access:  read_only
        .address_space:  global
        .offset:         56
        .size:           8
        .value_kind:     global_buffer
      - .actual_access:  read_only
        .address_space:  global
        .offset:         64
        .size:           8
        .value_kind:     global_buffer
      - .actual_access:  read_only
        .address_space:  global
        .offset:         72
        .size:           8
        .value_kind:     global_buffer
      - .actual_access:  read_only
        .address_space:  global
        .offset:         80
        .size:           8
        .value_kind:     global_buffer
      - .actual_access:  read_only
        .address_space:  global
        .offset:         88
        .size:           8
        .value_kind:     global_buffer
      - .address_space:  global
        .offset:         96
        .size:           8
        .value_kind:     global_buffer
      - .address_space:  global
        .offset:         104
        .size:           8
        .value_kind:     global_buffer
      - .address_space:  global
        .offset:         112
        .size:           8
        .value_kind:     global_buffer
    .group_segment_fixed_size: 0
    .kernarg_segment_align: 8
    .kernarg_segment_size: 120
    .language:       OpenCL C
    .language_version:
      - 2
      - 0
    .max_flat_workgroup_size: 1024
    .name:           _ZN9rocsparseL20kernel_calculate_cooILi1024ELi32ELb0EfiiEEvT4_T3_PKS1_S4_PKT2_21rocsparse_index_base_PKS2_SA_S4_SA_SA_S4_SA_PS5_PNS_15floating_traitsIS5_E6data_tEPKSE_
    .private_segment_fixed_size: 0
    .sgpr_count:     41
    .sgpr_spill_count: 0
    .symbol:         _ZN9rocsparseL20kernel_calculate_cooILi1024ELi32ELb0EfiiEEvT4_T3_PKS1_S4_PKT2_21rocsparse_index_base_PKS2_SA_S4_SA_SA_S4_SA_PS5_PNS_15floating_traitsIS5_E6data_tEPKSE_.kd
    .uniform_work_group_size: 1
    .uses_dynamic_stack: false
    .vgpr_count:     20
    .vgpr_spill_count: 0
    .wavefront_size: 64
  - .agpr_count:     0
    .args:
      - .offset:         0
        .size:           4
        .value_kind:     by_value
      - .offset:         4
        .size:           4
        .value_kind:     by_value
      - .actual_access:  read_only
        .address_space:  global
        .offset:         8
        .size:           8
        .value_kind:     global_buffer
      - .actual_access:  read_only
        .address_space:  global
        .offset:         16
        .size:           8
        .value_kind:     global_buffer
      - .actual_access:  read_only
        .address_space:  global
        .offset:         24
        .size:           8
        .value_kind:     global_buffer
      - .offset:         32
        .size:           4
        .value_kind:     by_value
      - .actual_access:  read_only
        .address_space:  global
        .offset:         40
        .size:           8
        .value_kind:     global_buffer
      - .actual_access:  read_only
        .address_space:  global
        .offset:         48
        .size:           8
        .value_kind:     global_buffer
      - .actual_access:  read_only
        .address_space:  global
        .offset:         56
        .size:           8
        .value_kind:     global_buffer
      - .actual_access:  read_only
        .address_space:  global
        .offset:         64
        .size:           8
        .value_kind:     global_buffer
      - .actual_access:  read_only
        .address_space:  global
        .offset:         72
        .size:           8
        .value_kind:     global_buffer
      - .actual_access:  read_only
        .address_space:  global
        .offset:         80
        .size:           8
        .value_kind:     global_buffer
      - .actual_access:  read_only
        .address_space:  global
        .offset:         88
        .size:           8
        .value_kind:     global_buffer
      - .address_space:  global
        .offset:         96
        .size:           8
        .value_kind:     global_buffer
      - .address_space:  global
        .offset:         104
        .size:           8
        .value_kind:     global_buffer
      - .address_space:  global
        .offset:         112
        .size:           8
        .value_kind:     global_buffer
    .group_segment_fixed_size: 0
    .kernarg_segment_align: 8
    .kernarg_segment_size: 120
    .language:       OpenCL C
    .language_version:
      - 2
      - 0
    .max_flat_workgroup_size: 1024
    .name:           _ZN9rocsparseL20kernel_calculate_cooILi1024ELi64ELb0EfiiEEvT4_T3_PKS1_S4_PKT2_21rocsparse_index_base_PKS2_SA_S4_SA_SA_S4_SA_PS5_PNS_15floating_traitsIS5_E6data_tEPKSE_
    .private_segment_fixed_size: 0
    .sgpr_count:     41
    .sgpr_spill_count: 0
    .symbol:         _ZN9rocsparseL20kernel_calculate_cooILi1024ELi64ELb0EfiiEEvT4_T3_PKS1_S4_PKT2_21rocsparse_index_base_PKS2_SA_S4_SA_SA_S4_SA_PS5_PNS_15floating_traitsIS5_E6data_tEPKSE_.kd
    .uniform_work_group_size: 1
    .uses_dynamic_stack: false
    .vgpr_count:     20
    .vgpr_spill_count: 0
    .wavefront_size: 64
  - .agpr_count:     0
    .args:
      - .offset:         0
        .size:           4
        .value_kind:     by_value
      - .offset:         4
        .size:           4
        .value_kind:     by_value
      - .actual_access:  read_only
        .address_space:  global
        .offset:         8
        .size:           8
        .value_kind:     global_buffer
      - .actual_access:  read_only
        .address_space:  global
        .offset:         16
        .size:           8
        .value_kind:     global_buffer
      - .actual_access:  read_only
        .address_space:  global
        .offset:         24
        .size:           8
        .value_kind:     global_buffer
      - .offset:         32
        .size:           4
        .value_kind:     by_value
      - .actual_access:  read_only
        .address_space:  global
        .offset:         40
        .size:           8
        .value_kind:     global_buffer
      - .actual_access:  read_only
        .address_space:  global
        .offset:         48
        .size:           8
        .value_kind:     global_buffer
      - .actual_access:  read_only
        .address_space:  global
        .offset:         56
        .size:           8
        .value_kind:     global_buffer
      - .actual_access:  read_only
        .address_space:  global
        .offset:         64
        .size:           8
        .value_kind:     global_buffer
      - .actual_access:  read_only
        .address_space:  global
        .offset:         72
        .size:           8
        .value_kind:     global_buffer
      - .actual_access:  read_only
        .address_space:  global
        .offset:         80
        .size:           8
        .value_kind:     global_buffer
      - .actual_access:  read_only
        .address_space:  global
        .offset:         88
        .size:           8
        .value_kind:     global_buffer
      - .address_space:  global
        .offset:         96
        .size:           8
        .value_kind:     global_buffer
      - .address_space:  global
        .offset:         104
        .size:           8
        .value_kind:     global_buffer
      - .address_space:  global
        .offset:         112
        .size:           8
        .value_kind:     global_buffer
    .group_segment_fixed_size: 256
    .kernarg_segment_align: 8
    .kernarg_segment_size: 120
    .language:       OpenCL C
    .language_version:
      - 2
      - 0
    .max_flat_workgroup_size: 1024
    .name:           _ZN9rocsparseL20kernel_calculate_cooILi1024ELi32ELb1EdiiEEvT4_T3_PKS1_S4_PKT2_21rocsparse_index_base_PKS2_SA_S4_SA_SA_S4_SA_PS5_PNS_15floating_traitsIS5_E6data_tEPKSE_
    .private_segment_fixed_size: 0
    .sgpr_count:     56
    .sgpr_spill_count: 0
    .symbol:         _ZN9rocsparseL20kernel_calculate_cooILi1024ELi32ELb1EdiiEEvT4_T3_PKS1_S4_PKT2_21rocsparse_index_base_PKS2_SA_S4_SA_SA_S4_SA_PS5_PNS_15floating_traitsIS5_E6data_tEPKSE_.kd
    .uniform_work_group_size: 1
    .uses_dynamic_stack: false
    .vgpr_count:     25
    .vgpr_spill_count: 0
    .wavefront_size: 64
  - .agpr_count:     0
    .args:
      - .offset:         0
        .size:           4
        .value_kind:     by_value
      - .offset:         4
        .size:           4
        .value_kind:     by_value
      - .actual_access:  read_only
        .address_space:  global
        .offset:         8
        .size:           8
        .value_kind:     global_buffer
      - .actual_access:  read_only
        .address_space:  global
        .offset:         16
        .size:           8
        .value_kind:     global_buffer
      - .actual_access:  read_only
        .address_space:  global
        .offset:         24
        .size:           8
        .value_kind:     global_buffer
      - .offset:         32
        .size:           4
        .value_kind:     by_value
      - .actual_access:  read_only
        .address_space:  global
        .offset:         40
        .size:           8
        .value_kind:     global_buffer
      - .actual_access:  read_only
        .address_space:  global
        .offset:         48
        .size:           8
        .value_kind:     global_buffer
      - .actual_access:  read_only
        .address_space:  global
        .offset:         56
        .size:           8
        .value_kind:     global_buffer
      - .actual_access:  read_only
        .address_space:  global
        .offset:         64
        .size:           8
        .value_kind:     global_buffer
      - .actual_access:  read_only
        .address_space:  global
        .offset:         72
        .size:           8
        .value_kind:     global_buffer
      - .actual_access:  read_only
        .address_space:  global
        .offset:         80
        .size:           8
        .value_kind:     global_buffer
      - .actual_access:  read_only
        .address_space:  global
        .offset:         88
        .size:           8
        .value_kind:     global_buffer
      - .address_space:  global
        .offset:         96
        .size:           8
        .value_kind:     global_buffer
      - .address_space:  global
        .offset:         104
        .size:           8
        .value_kind:     global_buffer
      - .address_space:  global
        .offset:         112
        .size:           8
        .value_kind:     global_buffer
    .group_segment_fixed_size: 128
    .kernarg_segment_align: 8
    .kernarg_segment_size: 120
    .language:       OpenCL C
    .language_version:
      - 2
      - 0
    .max_flat_workgroup_size: 1024
    .name:           _ZN9rocsparseL20kernel_calculate_cooILi1024ELi64ELb1EdiiEEvT4_T3_PKS1_S4_PKT2_21rocsparse_index_base_PKS2_SA_S4_SA_SA_S4_SA_PS5_PNS_15floating_traitsIS5_E6data_tEPKSE_
    .private_segment_fixed_size: 0
    .sgpr_count:     56
    .sgpr_spill_count: 0
    .symbol:         _ZN9rocsparseL20kernel_calculate_cooILi1024ELi64ELb1EdiiEEvT4_T3_PKS1_S4_PKT2_21rocsparse_index_base_PKS2_SA_S4_SA_SA_S4_SA_PS5_PNS_15floating_traitsIS5_E6data_tEPKSE_.kd
    .uniform_work_group_size: 1
    .uses_dynamic_stack: false
    .vgpr_count:     25
    .vgpr_spill_count: 0
    .wavefront_size: 64
  - .agpr_count:     0
    .args:
      - .offset:         0
        .size:           4
        .value_kind:     by_value
      - .offset:         4
        .size:           4
        .value_kind:     by_value
      - .actual_access:  read_only
        .address_space:  global
        .offset:         8
        .size:           8
        .value_kind:     global_buffer
      - .actual_access:  read_only
        .address_space:  global
        .offset:         16
        .size:           8
        .value_kind:     global_buffer
      - .actual_access:  read_only
        .address_space:  global
        .offset:         24
        .size:           8
        .value_kind:     global_buffer
      - .actual_access:  read_only
        .address_space:  global
        .offset:         32
        .size:           8
        .value_kind:     global_buffer
      - .offset:         40
        .size:           4
        .value_kind:     by_value
      - .actual_access:  read_only
        .address_space:  global
        .offset:         48
        .size:           8
        .value_kind:     global_buffer
      - .actual_access:  read_only
        .address_space:  global
        .offset:         56
        .size:           8
        .value_kind:     global_buffer
      - .actual_access:  read_only
        .address_space:  global
        .offset:         64
        .size:           8
        .value_kind:     global_buffer
      - .actual_access:  read_only
        .address_space:  global
        .offset:         72
        .size:           8
        .value_kind:     global_buffer
      - .actual_access:  read_only
        .address_space:  global
        .offset:         80
        .size:           8
        .value_kind:     global_buffer
      - .actual_access:  read_only
        .address_space:  global
        .offset:         88
        .size:           8
        .value_kind:     global_buffer
      - .actual_access:  read_only
        .address_space:  global
        .offset:         96
        .size:           8
        .value_kind:     global_buffer
      - .address_space:  global
        .offset:         104
        .size:           8
        .value_kind:     global_buffer
      - .address_space:  global
        .offset:         112
        .size:           8
        .value_kind:     global_buffer
      - .address_space:  global
        .offset:         120
        .size:           8
        .value_kind:     global_buffer
    .group_segment_fixed_size: 8192
    .kernarg_segment_align: 8
    .kernarg_segment_size: 128
    .language:       OpenCL C
    .language_version:
      - 2
      - 0
    .max_flat_workgroup_size: 1024
    .name:           _ZN9rocsparseL16kernel_calculateILi1024ELi1ELb1EdiiEEvT4_T3_PKS2_S4_PKS1_PKT2_21rocsparse_index_base_S4_S4_S6_S4_S4_S6_S4_PS7_PNS_15floating_traitsIS7_E6data_tEPKSE_
    .private_segment_fixed_size: 0
    .sgpr_count:     54
    .sgpr_spill_count: 0
    .symbol:         _ZN9rocsparseL16kernel_calculateILi1024ELi1ELb1EdiiEEvT4_T3_PKS2_S4_PKS1_PKT2_21rocsparse_index_base_S4_S4_S6_S4_S4_S6_S4_PS7_PNS_15floating_traitsIS7_E6data_tEPKSE_.kd
    .uniform_work_group_size: 1
    .uses_dynamic_stack: false
    .vgpr_count:     28
    .vgpr_spill_count: 0
    .wavefront_size: 64
  - .agpr_count:     0
    .args:
      - .offset:         0
        .size:           4
        .value_kind:     by_value
      - .offset:         4
        .size:           4
        .value_kind:     by_value
      - .actual_access:  read_only
        .address_space:  global
        .offset:         8
        .size:           8
        .value_kind:     global_buffer
      - .actual_access:  read_only
        .address_space:  global
        .offset:         16
        .size:           8
        .value_kind:     global_buffer
      - .actual_access:  read_only
        .address_space:  global
        .offset:         24
        .size:           8
        .value_kind:     global_buffer
      - .actual_access:  read_only
        .address_space:  global
        .offset:         32
        .size:           8
        .value_kind:     global_buffer
      - .offset:         40
        .size:           4
        .value_kind:     by_value
      - .actual_access:  read_only
        .address_space:  global
        .offset:         48
        .size:           8
        .value_kind:     global_buffer
      - .actual_access:  read_only
        .address_space:  global
        .offset:         56
        .size:           8
        .value_kind:     global_buffer
      - .actual_access:  read_only
        .address_space:  global
        .offset:         64
        .size:           8
        .value_kind:     global_buffer
      - .actual_access:  read_only
        .address_space:  global
        .offset:         72
        .size:           8
        .value_kind:     global_buffer
      - .actual_access:  read_only
        .address_space:  global
        .offset:         80
        .size:           8
        .value_kind:     global_buffer
      - .actual_access:  read_only
        .address_space:  global
        .offset:         88
        .size:           8
        .value_kind:     global_buffer
      - .actual_access:  read_only
        .address_space:  global
        .offset:         96
        .size:           8
        .value_kind:     global_buffer
      - .address_space:  global
        .offset:         104
        .size:           8
        .value_kind:     global_buffer
      - .address_space:  global
        .offset:         112
        .size:           8
        .value_kind:     global_buffer
      - .address_space:  global
        .offset:         120
        .size:           8
        .value_kind:     global_buffer
    .group_segment_fixed_size: 4096
    .kernarg_segment_align: 8
    .kernarg_segment_size: 128
    .language:       OpenCL C
    .language_version:
      - 2
      - 0
    .max_flat_workgroup_size: 1024
    .name:           _ZN9rocsparseL16kernel_calculateILi1024ELi2ELb1EdiiEEvT4_T3_PKS2_S4_PKS1_PKT2_21rocsparse_index_base_S4_S4_S6_S4_S4_S6_S4_PS7_PNS_15floating_traitsIS7_E6data_tEPKSE_
    .private_segment_fixed_size: 0
    .sgpr_count:     56
    .sgpr_spill_count: 0
    .symbol:         _ZN9rocsparseL16kernel_calculateILi1024ELi2ELb1EdiiEEvT4_T3_PKS2_S4_PKS1_PKT2_21rocsparse_index_base_S4_S4_S6_S4_S4_S6_S4_PS7_PNS_15floating_traitsIS7_E6data_tEPKSE_.kd
    .uniform_work_group_size: 1
    .uses_dynamic_stack: false
    .vgpr_count:     37
    .vgpr_spill_count: 0
    .wavefront_size: 64
  - .agpr_count:     0
    .args:
      - .offset:         0
        .size:           4
        .value_kind:     by_value
      - .offset:         4
        .size:           4
        .value_kind:     by_value
      - .actual_access:  read_only
        .address_space:  global
        .offset:         8
        .size:           8
        .value_kind:     global_buffer
      - .actual_access:  read_only
        .address_space:  global
        .offset:         16
        .size:           8
        .value_kind:     global_buffer
      - .actual_access:  read_only
        .address_space:  global
        .offset:         24
        .size:           8
        .value_kind:     global_buffer
      - .actual_access:  read_only
        .address_space:  global
        .offset:         32
        .size:           8
        .value_kind:     global_buffer
      - .offset:         40
        .size:           4
        .value_kind:     by_value
      - .actual_access:  read_only
        .address_space:  global
        .offset:         48
        .size:           8
        .value_kind:     global_buffer
      - .actual_access:  read_only
        .address_space:  global
        .offset:         56
        .size:           8
        .value_kind:     global_buffer
      - .actual_access:  read_only
        .address_space:  global
        .offset:         64
        .size:           8
        .value_kind:     global_buffer
      - .actual_access:  read_only
        .address_space:  global
        .offset:         72
        .size:           8
        .value_kind:     global_buffer
      - .actual_access:  read_only
        .address_space:  global
        .offset:         80
        .size:           8
        .value_kind:     global_buffer
      - .actual_access:  read_only
        .address_space:  global
        .offset:         88
        .size:           8
        .value_kind:     global_buffer
      - .actual_access:  read_only
        .address_space:  global
        .offset:         96
        .size:           8
        .value_kind:     global_buffer
      - .address_space:  global
        .offset:         104
        .size:           8
        .value_kind:     global_buffer
      - .address_space:  global
        .offset:         112
        .size:           8
        .value_kind:     global_buffer
      - .address_space:  global
        .offset:         120
        .size:           8
        .value_kind:     global_buffer
    .group_segment_fixed_size: 2048
    .kernarg_segment_align: 8
    .kernarg_segment_size: 128
    .language:       OpenCL C
    .language_version:
      - 2
      - 0
    .max_flat_workgroup_size: 1024
    .name:           _ZN9rocsparseL16kernel_calculateILi1024ELi4ELb1EdiiEEvT4_T3_PKS2_S4_PKS1_PKT2_21rocsparse_index_base_S4_S4_S6_S4_S4_S6_S4_PS7_PNS_15floating_traitsIS7_E6data_tEPKSE_
    .private_segment_fixed_size: 0
    .sgpr_count:     64
    .sgpr_spill_count: 0
    .symbol:         _ZN9rocsparseL16kernel_calculateILi1024ELi4ELb1EdiiEEvT4_T3_PKS2_S4_PKS1_PKT2_21rocsparse_index_base_S4_S4_S6_S4_S4_S6_S4_PS7_PNS_15floating_traitsIS7_E6data_tEPKSE_.kd
    .uniform_work_group_size: 1
    .uses_dynamic_stack: false
    .vgpr_count:     32
    .vgpr_spill_count: 0
    .wavefront_size: 64
  - .agpr_count:     0
    .args:
      - .offset:         0
        .size:           4
        .value_kind:     by_value
      - .offset:         4
        .size:           4
        .value_kind:     by_value
      - .actual_access:  read_only
        .address_space:  global
        .offset:         8
        .size:           8
        .value_kind:     global_buffer
      - .actual_access:  read_only
        .address_space:  global
        .offset:         16
        .size:           8
        .value_kind:     global_buffer
      - .actual_access:  read_only
        .address_space:  global
        .offset:         24
        .size:           8
        .value_kind:     global_buffer
      - .actual_access:  read_only
        .address_space:  global
        .offset:         32
        .size:           8
        .value_kind:     global_buffer
      - .offset:         40
        .size:           4
        .value_kind:     by_value
      - .actual_access:  read_only
        .address_space:  global
        .offset:         48
        .size:           8
        .value_kind:     global_buffer
      - .actual_access:  read_only
        .address_space:  global
        .offset:         56
        .size:           8
        .value_kind:     global_buffer
      - .actual_access:  read_only
        .address_space:  global
        .offset:         64
        .size:           8
        .value_kind:     global_buffer
      - .actual_access:  read_only
        .address_space:  global
        .offset:         72
        .size:           8
        .value_kind:     global_buffer
      - .actual_access:  read_only
        .address_space:  global
        .offset:         80
        .size:           8
        .value_kind:     global_buffer
      - .actual_access:  read_only
        .address_space:  global
        .offset:         88
        .size:           8
        .value_kind:     global_buffer
      - .actual_access:  read_only
        .address_space:  global
        .offset:         96
        .size:           8
        .value_kind:     global_buffer
      - .address_space:  global
        .offset:         104
        .size:           8
        .value_kind:     global_buffer
      - .address_space:  global
        .offset:         112
        .size:           8
        .value_kind:     global_buffer
      - .address_space:  global
        .offset:         120
        .size:           8
        .value_kind:     global_buffer
    .group_segment_fixed_size: 1024
    .kernarg_segment_align: 8
    .kernarg_segment_size: 128
    .language:       OpenCL C
    .language_version:
      - 2
      - 0
    .max_flat_workgroup_size: 1024
    .name:           _ZN9rocsparseL16kernel_calculateILi1024ELi8ELb1EdiiEEvT4_T3_PKS2_S4_PKS1_PKT2_21rocsparse_index_base_S4_S4_S6_S4_S4_S6_S4_PS7_PNS_15floating_traitsIS7_E6data_tEPKSE_
    .private_segment_fixed_size: 0
    .sgpr_count:     64
    .sgpr_spill_count: 0
    .symbol:         _ZN9rocsparseL16kernel_calculateILi1024ELi8ELb1EdiiEEvT4_T3_PKS2_S4_PKS1_PKT2_21rocsparse_index_base_S4_S4_S6_S4_S4_S6_S4_PS7_PNS_15floating_traitsIS7_E6data_tEPKSE_.kd
    .uniform_work_group_size: 1
    .uses_dynamic_stack: false
    .vgpr_count:     32
    .vgpr_spill_count: 0
    .wavefront_size: 64
  - .agpr_count:     0
    .args:
      - .offset:         0
        .size:           4
        .value_kind:     by_value
      - .offset:         4
        .size:           4
        .value_kind:     by_value
      - .actual_access:  read_only
        .address_space:  global
        .offset:         8
        .size:           8
        .value_kind:     global_buffer
      - .actual_access:  read_only
        .address_space:  global
        .offset:         16
        .size:           8
        .value_kind:     global_buffer
      - .actual_access:  read_only
        .address_space:  global
        .offset:         24
        .size:           8
        .value_kind:     global_buffer
      - .actual_access:  read_only
        .address_space:  global
        .offset:         32
        .size:           8
        .value_kind:     global_buffer
      - .offset:         40
        .size:           4
        .value_kind:     by_value
      - .actual_access:  read_only
        .address_space:  global
        .offset:         48
        .size:           8
        .value_kind:     global_buffer
      - .actual_access:  read_only
        .address_space:  global
        .offset:         56
        .size:           8
        .value_kind:     global_buffer
      - .actual_access:  read_only
        .address_space:  global
        .offset:         64
        .size:           8
        .value_kind:     global_buffer
      - .actual_access:  read_only
        .address_space:  global
        .offset:         72
        .size:           8
        .value_kind:     global_buffer
      - .actual_access:  read_only
        .address_space:  global
        .offset:         80
        .size:           8
        .value_kind:     global_buffer
      - .actual_access:  read_only
        .address_space:  global
        .offset:         88
        .size:           8
        .value_kind:     global_buffer
      - .actual_access:  read_only
        .address_space:  global
        .offset:         96
        .size:           8
        .value_kind:     global_buffer
      - .address_space:  global
        .offset:         104
        .size:           8
        .value_kind:     global_buffer
      - .address_space:  global
        .offset:         112
        .size:           8
        .value_kind:     global_buffer
      - .address_space:  global
        .offset:         120
        .size:           8
        .value_kind:     global_buffer
    .group_segment_fixed_size: 512
    .kernarg_segment_align: 8
    .kernarg_segment_size: 128
    .language:       OpenCL C
    .language_version:
      - 2
      - 0
    .max_flat_workgroup_size: 1024
    .name:           _ZN9rocsparseL16kernel_calculateILi1024ELi16ELb1EdiiEEvT4_T3_PKS2_S4_PKS1_PKT2_21rocsparse_index_base_S4_S4_S6_S4_S4_S6_S4_PS7_PNS_15floating_traitsIS7_E6data_tEPKSE_
    .private_segment_fixed_size: 0
    .sgpr_count:     64
    .sgpr_spill_count: 0
    .symbol:         _ZN9rocsparseL16kernel_calculateILi1024ELi16ELb1EdiiEEvT4_T3_PKS2_S4_PKS1_PKT2_21rocsparse_index_base_S4_S4_S6_S4_S4_S6_S4_PS7_PNS_15floating_traitsIS7_E6data_tEPKSE_.kd
    .uniform_work_group_size: 1
    .uses_dynamic_stack: false
    .vgpr_count:     32
    .vgpr_spill_count: 0
    .wavefront_size: 64
  - .agpr_count:     0
    .args:
      - .offset:         0
        .size:           4
        .value_kind:     by_value
      - .offset:         4
        .size:           4
        .value_kind:     by_value
      - .actual_access:  read_only
        .address_space:  global
        .offset:         8
        .size:           8
        .value_kind:     global_buffer
      - .actual_access:  read_only
        .address_space:  global
        .offset:         16
        .size:           8
        .value_kind:     global_buffer
      - .actual_access:  read_only
        .address_space:  global
        .offset:         24
        .size:           8
        .value_kind:     global_buffer
      - .actual_access:  read_only
        .address_space:  global
        .offset:         32
        .size:           8
        .value_kind:     global_buffer
      - .offset:         40
        .size:           4
        .value_kind:     by_value
      - .actual_access:  read_only
        .address_space:  global
        .offset:         48
        .size:           8
        .value_kind:     global_buffer
      - .actual_access:  read_only
        .address_space:  global
        .offset:         56
        .size:           8
        .value_kind:     global_buffer
      - .actual_access:  read_only
        .address_space:  global
        .offset:         64
        .size:           8
        .value_kind:     global_buffer
      - .actual_access:  read_only
        .address_space:  global
        .offset:         72
        .size:           8
        .value_kind:     global_buffer
      - .actual_access:  read_only
        .address_space:  global
        .offset:         80
        .size:           8
        .value_kind:     global_buffer
      - .actual_access:  read_only
        .address_space:  global
        .offset:         88
        .size:           8
        .value_kind:     global_buffer
      - .actual_access:  read_only
        .address_space:  global
        .offset:         96
        .size:           8
        .value_kind:     global_buffer
      - .address_space:  global
        .offset:         104
        .size:           8
        .value_kind:     global_buffer
      - .address_space:  global
        .offset:         112
        .size:           8
        .value_kind:     global_buffer
      - .address_space:  global
        .offset:         120
        .size:           8
        .value_kind:     global_buffer
    .group_segment_fixed_size: 256
    .kernarg_segment_align: 8
    .kernarg_segment_size: 128
    .language:       OpenCL C
    .language_version:
      - 2
      - 0
    .max_flat_workgroup_size: 1024
    .name:           _ZN9rocsparseL16kernel_calculateILi1024ELi32ELb1EdiiEEvT4_T3_PKS2_S4_PKS1_PKT2_21rocsparse_index_base_S4_S4_S6_S4_S4_S6_S4_PS7_PNS_15floating_traitsIS7_E6data_tEPKSE_
    .private_segment_fixed_size: 0
    .sgpr_count:     64
    .sgpr_spill_count: 0
    .symbol:         _ZN9rocsparseL16kernel_calculateILi1024ELi32ELb1EdiiEEvT4_T3_PKS2_S4_PKS1_PKT2_21rocsparse_index_base_S4_S4_S6_S4_S4_S6_S4_PS7_PNS_15floating_traitsIS7_E6data_tEPKSE_.kd
    .uniform_work_group_size: 1
    .uses_dynamic_stack: false
    .vgpr_count:     32
    .vgpr_spill_count: 0
    .wavefront_size: 64
  - .agpr_count:     0
    .args:
      - .offset:         0
        .size:           4
        .value_kind:     by_value
      - .offset:         4
        .size:           4
        .value_kind:     by_value
      - .actual_access:  read_only
        .address_space:  global
        .offset:         8
        .size:           8
        .value_kind:     global_buffer
      - .actual_access:  read_only
        .address_space:  global
        .offset:         16
        .size:           8
        .value_kind:     global_buffer
      - .actual_access:  read_only
        .address_space:  global
        .offset:         24
        .size:           8
        .value_kind:     global_buffer
      - .actual_access:  read_only
        .address_space:  global
        .offset:         32
        .size:           8
        .value_kind:     global_buffer
      - .offset:         40
        .size:           4
        .value_kind:     by_value
      - .actual_access:  read_only
        .address_space:  global
        .offset:         48
        .size:           8
        .value_kind:     global_buffer
      - .actual_access:  read_only
        .address_space:  global
        .offset:         56
        .size:           8
        .value_kind:     global_buffer
      - .actual_access:  read_only
        .address_space:  global
        .offset:         64
        .size:           8
        .value_kind:     global_buffer
      - .actual_access:  read_only
        .address_space:  global
        .offset:         72
        .size:           8
        .value_kind:     global_buffer
      - .actual_access:  read_only
        .address_space:  global
        .offset:         80
        .size:           8
        .value_kind:     global_buffer
      - .actual_access:  read_only
        .address_space:  global
        .offset:         88
        .size:           8
        .value_kind:     global_buffer
      - .actual_access:  read_only
        .address_space:  global
        .offset:         96
        .size:           8
        .value_kind:     global_buffer
      - .address_space:  global
        .offset:         104
        .size:           8
        .value_kind:     global_buffer
      - .address_space:  global
        .offset:         112
        .size:           8
        .value_kind:     global_buffer
      - .address_space:  global
        .offset:         120
        .size:           8
        .value_kind:     global_buffer
    .group_segment_fixed_size: 128
    .kernarg_segment_align: 8
    .kernarg_segment_size: 128
    .language:       OpenCL C
    .language_version:
      - 2
      - 0
    .max_flat_workgroup_size: 1024
    .name:           _ZN9rocsparseL16kernel_calculateILi1024ELi64ELb1EdiiEEvT4_T3_PKS2_S4_PKS1_PKT2_21rocsparse_index_base_S4_S4_S6_S4_S4_S6_S4_PS7_PNS_15floating_traitsIS7_E6data_tEPKSE_
    .private_segment_fixed_size: 0
    .sgpr_count:     64
    .sgpr_spill_count: 0
    .symbol:         _ZN9rocsparseL16kernel_calculateILi1024ELi64ELb1EdiiEEvT4_T3_PKS2_S4_PKS1_PKT2_21rocsparse_index_base_S4_S4_S6_S4_S4_S6_S4_PS7_PNS_15floating_traitsIS7_E6data_tEPKSE_.kd
    .uniform_work_group_size: 1
    .uses_dynamic_stack: false
    .vgpr_count:     32
    .vgpr_spill_count: 0
    .wavefront_size: 64
  - .agpr_count:     0
    .args:
      - .offset:         0
        .size:           4
        .value_kind:     by_value
      - .offset:         4
        .size:           4
        .value_kind:     by_value
      - .actual_access:  read_only
        .address_space:  global
        .offset:         8
        .size:           8
        .value_kind:     global_buffer
      - .actual_access:  read_only
        .address_space:  global
        .offset:         16
        .size:           8
        .value_kind:     global_buffer
      - .actual_access:  read_only
        .address_space:  global
        .offset:         24
        .size:           8
        .value_kind:     global_buffer
      - .actual_access:  read_only
        .address_space:  global
        .offset:         32
        .size:           8
        .value_kind:     global_buffer
      - .offset:         40
        .size:           4
        .value_kind:     by_value
      - .actual_access:  read_only
        .address_space:  global
        .offset:         48
        .size:           8
        .value_kind:     global_buffer
      - .actual_access:  read_only
        .address_space:  global
        .offset:         56
        .size:           8
        .value_kind:     global_buffer
      - .actual_access:  read_only
        .address_space:  global
        .offset:         64
        .size:           8
        .value_kind:     global_buffer
      - .actual_access:  read_only
        .address_space:  global
        .offset:         72
        .size:           8
        .value_kind:     global_buffer
      - .actual_access:  read_only
        .address_space:  global
        .offset:         80
        .size:           8
        .value_kind:     global_buffer
      - .actual_access:  read_only
        .address_space:  global
        .offset:         88
        .size:           8
        .value_kind:     global_buffer
      - .actual_access:  read_only
        .address_space:  global
        .offset:         96
        .size:           8
        .value_kind:     global_buffer
      - .address_space:  global
        .offset:         104
        .size:           8
        .value_kind:     global_buffer
      - .address_space:  global
        .offset:         112
        .size:           8
        .value_kind:     global_buffer
      - .address_space:  global
        .offset:         120
        .size:           8
        .value_kind:     global_buffer
    .group_segment_fixed_size: 0
    .kernarg_segment_align: 8
    .kernarg_segment_size: 128
    .language:       OpenCL C
    .language_version:
      - 2
      - 0
    .max_flat_workgroup_size: 1024
    .name:           _ZN9rocsparseL16kernel_calculateILi1024ELi1ELb0EdiiEEvT4_T3_PKS2_S4_PKS1_PKT2_21rocsparse_index_base_S4_S4_S6_S4_S4_S6_S4_PS7_PNS_15floating_traitsIS7_E6data_tEPKSE_
    .private_segment_fixed_size: 0
    .sgpr_count:     36
    .sgpr_spill_count: 0
    .symbol:         _ZN9rocsparseL16kernel_calculateILi1024ELi1ELb0EdiiEEvT4_T3_PKS2_S4_PKS1_PKT2_21rocsparse_index_base_S4_S4_S6_S4_S4_S6_S4_PS7_PNS_15floating_traitsIS7_E6data_tEPKSE_.kd
    .uniform_work_group_size: 1
    .uses_dynamic_stack: false
    .vgpr_count:     24
    .vgpr_spill_count: 0
    .wavefront_size: 64
  - .agpr_count:     0
    .args:
      - .offset:         0
        .size:           4
        .value_kind:     by_value
      - .offset:         4
        .size:           4
        .value_kind:     by_value
      - .actual_access:  read_only
        .address_space:  global
        .offset:         8
        .size:           8
        .value_kind:     global_buffer
      - .actual_access:  read_only
        .address_space:  global
        .offset:         16
        .size:           8
        .value_kind:     global_buffer
      - .actual_access:  read_only
        .address_space:  global
        .offset:         24
        .size:           8
        .value_kind:     global_buffer
      - .actual_access:  read_only
        .address_space:  global
        .offset:         32
        .size:           8
        .value_kind:     global_buffer
      - .offset:         40
        .size:           4
        .value_kind:     by_value
      - .actual_access:  read_only
        .address_space:  global
        .offset:         48
        .size:           8
        .value_kind:     global_buffer
      - .actual_access:  read_only
        .address_space:  global
        .offset:         56
        .size:           8
        .value_kind:     global_buffer
      - .actual_access:  read_only
        .address_space:  global
        .offset:         64
        .size:           8
        .value_kind:     global_buffer
      - .actual_access:  read_only
        .address_space:  global
        .offset:         72
        .size:           8
        .value_kind:     global_buffer
      - .actual_access:  read_only
        .address_space:  global
        .offset:         80
        .size:           8
        .value_kind:     global_buffer
      - .actual_access:  read_only
        .address_space:  global
        .offset:         88
        .size:           8
        .value_kind:     global_buffer
      - .actual_access:  read_only
        .address_space:  global
        .offset:         96
        .size:           8
        .value_kind:     global_buffer
      - .address_space:  global
        .offset:         104
        .size:           8
        .value_kind:     global_buffer
      - .address_space:  global
        .offset:         112
        .size:           8
        .value_kind:     global_buffer
      - .address_space:  global
        .offset:         120
        .size:           8
        .value_kind:     global_buffer
    .group_segment_fixed_size: 0
    .kernarg_segment_align: 8
    .kernarg_segment_size: 128
    .language:       OpenCL C
    .language_version:
      - 2
      - 0
    .max_flat_workgroup_size: 1024
    .name:           _ZN9rocsparseL16kernel_calculateILi1024ELi2ELb0EdiiEEvT4_T3_PKS2_S4_PKS1_PKT2_21rocsparse_index_base_S4_S4_S6_S4_S4_S6_S4_PS7_PNS_15floating_traitsIS7_E6data_tEPKSE_
    .private_segment_fixed_size: 0
    .sgpr_count:     42
    .sgpr_spill_count: 0
    .symbol:         _ZN9rocsparseL16kernel_calculateILi1024ELi2ELb0EdiiEEvT4_T3_PKS2_S4_PKS1_PKT2_21rocsparse_index_base_S4_S4_S6_S4_S4_S6_S4_PS7_PNS_15floating_traitsIS7_E6data_tEPKSE_.kd
    .uniform_work_group_size: 1
    .uses_dynamic_stack: false
    .vgpr_count:     32
    .vgpr_spill_count: 0
    .wavefront_size: 64
  - .agpr_count:     0
    .args:
      - .offset:         0
        .size:           4
        .value_kind:     by_value
      - .offset:         4
        .size:           4
        .value_kind:     by_value
      - .actual_access:  read_only
        .address_space:  global
        .offset:         8
        .size:           8
        .value_kind:     global_buffer
      - .actual_access:  read_only
        .address_space:  global
        .offset:         16
        .size:           8
        .value_kind:     global_buffer
      - .actual_access:  read_only
        .address_space:  global
        .offset:         24
        .size:           8
        .value_kind:     global_buffer
      - .actual_access:  read_only
        .address_space:  global
        .offset:         32
        .size:           8
        .value_kind:     global_buffer
      - .offset:         40
        .size:           4
        .value_kind:     by_value
      - .actual_access:  read_only
        .address_space:  global
        .offset:         48
        .size:           8
        .value_kind:     global_buffer
      - .actual_access:  read_only
        .address_space:  global
        .offset:         56
        .size:           8
        .value_kind:     global_buffer
      - .actual_access:  read_only
        .address_space:  global
        .offset:         64
        .size:           8
        .value_kind:     global_buffer
      - .actual_access:  read_only
        .address_space:  global
        .offset:         72
        .size:           8
        .value_kind:     global_buffer
      - .actual_access:  read_only
        .address_space:  global
        .offset:         80
        .size:           8
        .value_kind:     global_buffer
      - .actual_access:  read_only
        .address_space:  global
        .offset:         88
        .size:           8
        .value_kind:     global_buffer
      - .actual_access:  read_only
        .address_space:  global
        .offset:         96
        .size:           8
        .value_kind:     global_buffer
      - .address_space:  global
        .offset:         104
        .size:           8
        .value_kind:     global_buffer
      - .address_space:  global
        .offset:         112
        .size:           8
        .value_kind:     global_buffer
      - .address_space:  global
        .offset:         120
        .size:           8
        .value_kind:     global_buffer
    .group_segment_fixed_size: 0
    .kernarg_segment_align: 8
    .kernarg_segment_size: 128
    .language:       OpenCL C
    .language_version:
      - 2
      - 0
    .max_flat_workgroup_size: 1024
    .name:           _ZN9rocsparseL16kernel_calculateILi1024ELi4ELb0EdiiEEvT4_T3_PKS2_S4_PKS1_PKT2_21rocsparse_index_base_S4_S4_S6_S4_S4_S6_S4_PS7_PNS_15floating_traitsIS7_E6data_tEPKSE_
    .private_segment_fixed_size: 0
    .sgpr_count:     47
    .sgpr_spill_count: 0
    .symbol:         _ZN9rocsparseL16kernel_calculateILi1024ELi4ELb0EdiiEEvT4_T3_PKS2_S4_PKS1_PKT2_21rocsparse_index_base_S4_S4_S6_S4_S4_S6_S4_PS7_PNS_15floating_traitsIS7_E6data_tEPKSE_.kd
    .uniform_work_group_size: 1
    .uses_dynamic_stack: false
    .vgpr_count:     26
    .vgpr_spill_count: 0
    .wavefront_size: 64
  - .agpr_count:     0
    .args:
      - .offset:         0
        .size:           4
        .value_kind:     by_value
      - .offset:         4
        .size:           4
        .value_kind:     by_value
      - .actual_access:  read_only
        .address_space:  global
        .offset:         8
        .size:           8
        .value_kind:     global_buffer
      - .actual_access:  read_only
        .address_space:  global
        .offset:         16
        .size:           8
        .value_kind:     global_buffer
      - .actual_access:  read_only
        .address_space:  global
        .offset:         24
        .size:           8
        .value_kind:     global_buffer
      - .actual_access:  read_only
        .address_space:  global
        .offset:         32
        .size:           8
        .value_kind:     global_buffer
      - .offset:         40
        .size:           4
        .value_kind:     by_value
      - .actual_access:  read_only
        .address_space:  global
        .offset:         48
        .size:           8
        .value_kind:     global_buffer
      - .actual_access:  read_only
        .address_space:  global
        .offset:         56
        .size:           8
        .value_kind:     global_buffer
      - .actual_access:  read_only
        .address_space:  global
        .offset:         64
        .size:           8
        .value_kind:     global_buffer
      - .actual_access:  read_only
        .address_space:  global
        .offset:         72
        .size:           8
        .value_kind:     global_buffer
      - .actual_access:  read_only
        .address_space:  global
        .offset:         80
        .size:           8
        .value_kind:     global_buffer
      - .actual_access:  read_only
        .address_space:  global
        .offset:         88
        .size:           8
        .value_kind:     global_buffer
      - .actual_access:  read_only
        .address_space:  global
        .offset:         96
        .size:           8
        .value_kind:     global_buffer
      - .address_space:  global
        .offset:         104
        .size:           8
        .value_kind:     global_buffer
      - .address_space:  global
        .offset:         112
        .size:           8
        .value_kind:     global_buffer
      - .address_space:  global
        .offset:         120
        .size:           8
        .value_kind:     global_buffer
    .group_segment_fixed_size: 0
    .kernarg_segment_align: 8
    .kernarg_segment_size: 128
    .language:       OpenCL C
    .language_version:
      - 2
      - 0
    .max_flat_workgroup_size: 1024
    .name:           _ZN9rocsparseL16kernel_calculateILi1024ELi8ELb0EdiiEEvT4_T3_PKS2_S4_PKS1_PKT2_21rocsparse_index_base_S4_S4_S6_S4_S4_S6_S4_PS7_PNS_15floating_traitsIS7_E6data_tEPKSE_
    .private_segment_fixed_size: 0
    .sgpr_count:     47
    .sgpr_spill_count: 0
    .symbol:         _ZN9rocsparseL16kernel_calculateILi1024ELi8ELb0EdiiEEvT4_T3_PKS2_S4_PKS1_PKT2_21rocsparse_index_base_S4_S4_S6_S4_S4_S6_S4_PS7_PNS_15floating_traitsIS7_E6data_tEPKSE_.kd
    .uniform_work_group_size: 1
    .uses_dynamic_stack: false
    .vgpr_count:     26
    .vgpr_spill_count: 0
    .wavefront_size: 64
  - .agpr_count:     0
    .args:
      - .offset:         0
        .size:           4
        .value_kind:     by_value
      - .offset:         4
        .size:           4
        .value_kind:     by_value
      - .actual_access:  read_only
        .address_space:  global
        .offset:         8
        .size:           8
        .value_kind:     global_buffer
      - .actual_access:  read_only
        .address_space:  global
        .offset:         16
        .size:           8
        .value_kind:     global_buffer
      - .actual_access:  read_only
        .address_space:  global
        .offset:         24
        .size:           8
        .value_kind:     global_buffer
      - .actual_access:  read_only
        .address_space:  global
        .offset:         32
        .size:           8
        .value_kind:     global_buffer
      - .offset:         40
        .size:           4
        .value_kind:     by_value
      - .actual_access:  read_only
        .address_space:  global
        .offset:         48
        .size:           8
        .value_kind:     global_buffer
      - .actual_access:  read_only
        .address_space:  global
        .offset:         56
        .size:           8
        .value_kind:     global_buffer
      - .actual_access:  read_only
        .address_space:  global
        .offset:         64
        .size:           8
        .value_kind:     global_buffer
      - .actual_access:  read_only
        .address_space:  global
        .offset:         72
        .size:           8
        .value_kind:     global_buffer
      - .actual_access:  read_only
        .address_space:  global
        .offset:         80
        .size:           8
        .value_kind:     global_buffer
      - .actual_access:  read_only
        .address_space:  global
        .offset:         88
        .size:           8
        .value_kind:     global_buffer
      - .actual_access:  read_only
        .address_space:  global
        .offset:         96
        .size:           8
        .value_kind:     global_buffer
      - .address_space:  global
        .offset:         104
        .size:           8
        .value_kind:     global_buffer
      - .address_space:  global
        .offset:         112
        .size:           8
        .value_kind:     global_buffer
      - .address_space:  global
        .offset:         120
        .size:           8
        .value_kind:     global_buffer
    .group_segment_fixed_size: 0
    .kernarg_segment_align: 8
    .kernarg_segment_size: 128
    .language:       OpenCL C
    .language_version:
      - 2
      - 0
    .max_flat_workgroup_size: 1024
    .name:           _ZN9rocsparseL16kernel_calculateILi1024ELi16ELb0EdiiEEvT4_T3_PKS2_S4_PKS1_PKT2_21rocsparse_index_base_S4_S4_S6_S4_S4_S6_S4_PS7_PNS_15floating_traitsIS7_E6data_tEPKSE_
    .private_segment_fixed_size: 0
    .sgpr_count:     47
    .sgpr_spill_count: 0
    .symbol:         _ZN9rocsparseL16kernel_calculateILi1024ELi16ELb0EdiiEEvT4_T3_PKS2_S4_PKS1_PKT2_21rocsparse_index_base_S4_S4_S6_S4_S4_S6_S4_PS7_PNS_15floating_traitsIS7_E6data_tEPKSE_.kd
    .uniform_work_group_size: 1
    .uses_dynamic_stack: false
    .vgpr_count:     26
    .vgpr_spill_count: 0
    .wavefront_size: 64
  - .agpr_count:     0
    .args:
      - .offset:         0
        .size:           4
        .value_kind:     by_value
      - .offset:         4
        .size:           4
        .value_kind:     by_value
      - .actual_access:  read_only
        .address_space:  global
        .offset:         8
        .size:           8
        .value_kind:     global_buffer
      - .actual_access:  read_only
        .address_space:  global
        .offset:         16
        .size:           8
        .value_kind:     global_buffer
      - .actual_access:  read_only
        .address_space:  global
        .offset:         24
        .size:           8
        .value_kind:     global_buffer
      - .actual_access:  read_only
        .address_space:  global
        .offset:         32
        .size:           8
        .value_kind:     global_buffer
      - .offset:         40
        .size:           4
        .value_kind:     by_value
      - .actual_access:  read_only
        .address_space:  global
        .offset:         48
        .size:           8
        .value_kind:     global_buffer
      - .actual_access:  read_only
        .address_space:  global
        .offset:         56
        .size:           8
        .value_kind:     global_buffer
      - .actual_access:  read_only
        .address_space:  global
        .offset:         64
        .size:           8
        .value_kind:     global_buffer
      - .actual_access:  read_only
        .address_space:  global
        .offset:         72
        .size:           8
        .value_kind:     global_buffer
      - .actual_access:  read_only
        .address_space:  global
        .offset:         80
        .size:           8
        .value_kind:     global_buffer
      - .actual_access:  read_only
        .address_space:  global
        .offset:         88
        .size:           8
        .value_kind:     global_buffer
      - .actual_access:  read_only
        .address_space:  global
        .offset:         96
        .size:           8
        .value_kind:     global_buffer
      - .address_space:  global
        .offset:         104
        .size:           8
        .value_kind:     global_buffer
      - .address_space:  global
        .offset:         112
        .size:           8
        .value_kind:     global_buffer
      - .address_space:  global
        .offset:         120
        .size:           8
        .value_kind:     global_buffer
    .group_segment_fixed_size: 0
    .kernarg_segment_align: 8
    .kernarg_segment_size: 128
    .language:       OpenCL C
    .language_version:
      - 2
      - 0
    .max_flat_workgroup_size: 1024
    .name:           _ZN9rocsparseL16kernel_calculateILi1024ELi32ELb0EdiiEEvT4_T3_PKS2_S4_PKS1_PKT2_21rocsparse_index_base_S4_S4_S6_S4_S4_S6_S4_PS7_PNS_15floating_traitsIS7_E6data_tEPKSE_
    .private_segment_fixed_size: 0
    .sgpr_count:     47
    .sgpr_spill_count: 0
    .symbol:         _ZN9rocsparseL16kernel_calculateILi1024ELi32ELb0EdiiEEvT4_T3_PKS2_S4_PKS1_PKT2_21rocsparse_index_base_S4_S4_S6_S4_S4_S6_S4_PS7_PNS_15floating_traitsIS7_E6data_tEPKSE_.kd
    .uniform_work_group_size: 1
    .uses_dynamic_stack: false
    .vgpr_count:     26
    .vgpr_spill_count: 0
    .wavefront_size: 64
  - .agpr_count:     0
    .args:
      - .offset:         0
        .size:           4
        .value_kind:     by_value
      - .offset:         4
        .size:           4
        .value_kind:     by_value
      - .actual_access:  read_only
        .address_space:  global
        .offset:         8
        .size:           8
        .value_kind:     global_buffer
      - .actual_access:  read_only
        .address_space:  global
        .offset:         16
        .size:           8
        .value_kind:     global_buffer
      - .actual_access:  read_only
        .address_space:  global
        .offset:         24
        .size:           8
        .value_kind:     global_buffer
      - .actual_access:  read_only
        .address_space:  global
        .offset:         32
        .size:           8
        .value_kind:     global_buffer
      - .offset:         40
        .size:           4
        .value_kind:     by_value
      - .actual_access:  read_only
        .address_space:  global
        .offset:         48
        .size:           8
        .value_kind:     global_buffer
      - .actual_access:  read_only
        .address_space:  global
        .offset:         56
        .size:           8
        .value_kind:     global_buffer
      - .actual_access:  read_only
        .address_space:  global
        .offset:         64
        .size:           8
        .value_kind:     global_buffer
      - .actual_access:  read_only
        .address_space:  global
        .offset:         72
        .size:           8
        .value_kind:     global_buffer
      - .actual_access:  read_only
        .address_space:  global
        .offset:         80
        .size:           8
        .value_kind:     global_buffer
      - .actual_access:  read_only
        .address_space:  global
        .offset:         88
        .size:           8
        .value_kind:     global_buffer
      - .actual_access:  read_only
        .address_space:  global
        .offset:         96
        .size:           8
        .value_kind:     global_buffer
      - .address_space:  global
        .offset:         104
        .size:           8
        .value_kind:     global_buffer
      - .address_space:  global
        .offset:         112
        .size:           8
        .value_kind:     global_buffer
      - .address_space:  global
        .offset:         120
        .size:           8
        .value_kind:     global_buffer
    .group_segment_fixed_size: 0
    .kernarg_segment_align: 8
    .kernarg_segment_size: 128
    .language:       OpenCL C
    .language_version:
      - 2
      - 0
    .max_flat_workgroup_size: 1024
    .name:           _ZN9rocsparseL16kernel_calculateILi1024ELi64ELb0EdiiEEvT4_T3_PKS2_S4_PKS1_PKT2_21rocsparse_index_base_S4_S4_S6_S4_S4_S6_S4_PS7_PNS_15floating_traitsIS7_E6data_tEPKSE_
    .private_segment_fixed_size: 0
    .sgpr_count:     47
    .sgpr_spill_count: 0
    .symbol:         _ZN9rocsparseL16kernel_calculateILi1024ELi64ELb0EdiiEEvT4_T3_PKS2_S4_PKS1_PKT2_21rocsparse_index_base_S4_S4_S6_S4_S4_S6_S4_PS7_PNS_15floating_traitsIS7_E6data_tEPKSE_.kd
    .uniform_work_group_size: 1
    .uses_dynamic_stack: false
    .vgpr_count:     26
    .vgpr_spill_count: 0
    .wavefront_size: 64
  - .agpr_count:     0
    .args:
      - .offset:         0
        .size:           4
        .value_kind:     by_value
      - .offset:         4
        .size:           4
        .value_kind:     by_value
      - .actual_access:  read_only
        .address_space:  global
        .offset:         8
        .size:           8
        .value_kind:     global_buffer
      - .actual_access:  read_only
        .address_space:  global
        .offset:         16
        .size:           8
        .value_kind:     global_buffer
      - .actual_access:  read_only
        .address_space:  global
        .offset:         24
        .size:           8
        .value_kind:     global_buffer
      - .offset:         32
        .size:           4
        .value_kind:     by_value
      - .actual_access:  read_only
        .address_space:  global
        .offset:         40
        .size:           8
        .value_kind:     global_buffer
      - .actual_access:  read_only
        .address_space:  global
        .offset:         48
        .size:           8
        .value_kind:     global_buffer
      - .actual_access:  read_only
        .address_space:  global
        .offset:         56
        .size:           8
        .value_kind:     global_buffer
      - .actual_access:  read_only
        .address_space:  global
        .offset:         64
        .size:           8
        .value_kind:     global_buffer
      - .actual_access:  read_only
        .address_space:  global
        .offset:         72
        .size:           8
        .value_kind:     global_buffer
      - .actual_access:  read_only
        .address_space:  global
        .offset:         80
        .size:           8
        .value_kind:     global_buffer
      - .actual_access:  read_only
        .address_space:  global
        .offset:         88
        .size:           8
        .value_kind:     global_buffer
      - .address_space:  global
        .offset:         96
        .size:           8
        .value_kind:     global_buffer
      - .address_space:  global
        .offset:         104
        .size:           8
        .value_kind:     global_buffer
      - .address_space:  global
        .offset:         112
        .size:           8
        .value_kind:     global_buffer
    .group_segment_fixed_size: 0
    .kernarg_segment_align: 8
    .kernarg_segment_size: 120
    .language:       OpenCL C
    .language_version:
      - 2
      - 0
    .max_flat_workgroup_size: 1024
    .name:           _ZN9rocsparseL20kernel_calculate_cooILi1024ELi32ELb0EdiiEEvT4_T3_PKS1_S4_PKT2_21rocsparse_index_base_PKS2_SA_S4_SA_SA_S4_SA_PS5_PNS_15floating_traitsIS5_E6data_tEPKSE_
    .private_segment_fixed_size: 0
    .sgpr_count:     41
    .sgpr_spill_count: 0
    .symbol:         _ZN9rocsparseL20kernel_calculate_cooILi1024ELi32ELb0EdiiEEvT4_T3_PKS1_S4_PKT2_21rocsparse_index_base_PKS2_SA_S4_SA_SA_S4_SA_PS5_PNS_15floating_traitsIS5_E6data_tEPKSE_.kd
    .uniform_work_group_size: 1
    .uses_dynamic_stack: false
    .vgpr_count:     22
    .vgpr_spill_count: 0
    .wavefront_size: 64
  - .agpr_count:     0
    .args:
      - .offset:         0
        .size:           4
        .value_kind:     by_value
      - .offset:         4
        .size:           4
        .value_kind:     by_value
      - .actual_access:  read_only
        .address_space:  global
        .offset:         8
        .size:           8
        .value_kind:     global_buffer
      - .actual_access:  read_only
        .address_space:  global
        .offset:         16
        .size:           8
        .value_kind:     global_buffer
      - .actual_access:  read_only
        .address_space:  global
        .offset:         24
        .size:           8
        .value_kind:     global_buffer
      - .offset:         32
        .size:           4
        .value_kind:     by_value
      - .actual_access:  read_only
        .address_space:  global
        .offset:         40
        .size:           8
        .value_kind:     global_buffer
      - .actual_access:  read_only
        .address_space:  global
        .offset:         48
        .size:           8
        .value_kind:     global_buffer
      - .actual_access:  read_only
        .address_space:  global
        .offset:         56
        .size:           8
        .value_kind:     global_buffer
      - .actual_access:  read_only
        .address_space:  global
        .offset:         64
        .size:           8
        .value_kind:     global_buffer
      - .actual_access:  read_only
        .address_space:  global
        .offset:         72
        .size:           8
        .value_kind:     global_buffer
      - .actual_access:  read_only
        .address_space:  global
        .offset:         80
        .size:           8
        .value_kind:     global_buffer
      - .actual_access:  read_only
        .address_space:  global
        .offset:         88
        .size:           8
        .value_kind:     global_buffer
      - .address_space:  global
        .offset:         96
        .size:           8
        .value_kind:     global_buffer
      - .address_space:  global
        .offset:         104
        .size:           8
        .value_kind:     global_buffer
      - .address_space:  global
        .offset:         112
        .size:           8
        .value_kind:     global_buffer
    .group_segment_fixed_size: 0
    .kernarg_segment_align: 8
    .kernarg_segment_size: 120
    .language:       OpenCL C
    .language_version:
      - 2
      - 0
    .max_flat_workgroup_size: 1024
    .name:           _ZN9rocsparseL20kernel_calculate_cooILi1024ELi64ELb0EdiiEEvT4_T3_PKS1_S4_PKT2_21rocsparse_index_base_PKS2_SA_S4_SA_SA_S4_SA_PS5_PNS_15floating_traitsIS5_E6data_tEPKSE_
    .private_segment_fixed_size: 0
    .sgpr_count:     41
    .sgpr_spill_count: 0
    .symbol:         _ZN9rocsparseL20kernel_calculate_cooILi1024ELi64ELb0EdiiEEvT4_T3_PKS1_S4_PKT2_21rocsparse_index_base_PKS2_SA_S4_SA_SA_S4_SA_PS5_PNS_15floating_traitsIS5_E6data_tEPKSE_.kd
    .uniform_work_group_size: 1
    .uses_dynamic_stack: false
    .vgpr_count:     22
    .vgpr_spill_count: 0
    .wavefront_size: 64
  - .agpr_count:     0
    .args:
      - .offset:         0
        .size:           4
        .value_kind:     by_value
      - .offset:         4
        .size:           4
        .value_kind:     by_value
      - .actual_access:  read_only
        .address_space:  global
        .offset:         8
        .size:           8
        .value_kind:     global_buffer
      - .actual_access:  read_only
        .address_space:  global
        .offset:         16
        .size:           8
        .value_kind:     global_buffer
      - .actual_access:  read_only
        .address_space:  global
        .offset:         24
        .size:           8
        .value_kind:     global_buffer
      - .offset:         32
        .size:           4
        .value_kind:     by_value
      - .actual_access:  read_only
        .address_space:  global
        .offset:         40
        .size:           8
        .value_kind:     global_buffer
      - .actual_access:  read_only
        .address_space:  global
        .offset:         48
        .size:           8
        .value_kind:     global_buffer
      - .actual_access:  read_only
        .address_space:  global
        .offset:         56
        .size:           8
        .value_kind:     global_buffer
      - .actual_access:  read_only
        .address_space:  global
        .offset:         64
        .size:           8
        .value_kind:     global_buffer
      - .actual_access:  read_only
        .address_space:  global
        .offset:         72
        .size:           8
        .value_kind:     global_buffer
      - .actual_access:  read_only
        .address_space:  global
        .offset:         80
        .size:           8
        .value_kind:     global_buffer
      - .actual_access:  read_only
        .address_space:  global
        .offset:         88
        .size:           8
        .value_kind:     global_buffer
      - .address_space:  global
        .offset:         96
        .size:           8
        .value_kind:     global_buffer
      - .address_space:  global
        .offset:         104
        .size:           8
        .value_kind:     global_buffer
      - .address_space:  global
        .offset:         112
        .size:           8
        .value_kind:     global_buffer
    .group_segment_fixed_size: 128
    .kernarg_segment_align: 8
    .kernarg_segment_size: 120
    .language:       OpenCL C
    .language_version:
      - 2
      - 0
    .max_flat_workgroup_size: 1024
    .name:           _ZN9rocsparseL20kernel_calculate_cooILi1024ELi32ELb1E21rocsparse_complex_numIfEiiEEvT4_T3_PKS3_S6_PKT2_21rocsparse_index_base_PKS4_SC_S6_SC_SC_S6_SC_PS7_PNS_15floating_traitsIS7_E6data_tEPKSG_
    .private_segment_fixed_size: 0
    .sgpr_count:     56
    .sgpr_spill_count: 0
    .symbol:         _ZN9rocsparseL20kernel_calculate_cooILi1024ELi32ELb1E21rocsparse_complex_numIfEiiEEvT4_T3_PKS3_S6_PKT2_21rocsparse_index_base_PKS4_SC_S6_SC_SC_S6_SC_PS7_PNS_15floating_traitsIS7_E6data_tEPKSG_.kd
    .uniform_work_group_size: 1
    .uses_dynamic_stack: false
    .vgpr_count:     28
    .vgpr_spill_count: 0
    .wavefront_size: 64
  - .agpr_count:     0
    .args:
      - .offset:         0
        .size:           4
        .value_kind:     by_value
      - .offset:         4
        .size:           4
        .value_kind:     by_value
      - .actual_access:  read_only
        .address_space:  global
        .offset:         8
        .size:           8
        .value_kind:     global_buffer
      - .actual_access:  read_only
        .address_space:  global
        .offset:         16
        .size:           8
        .value_kind:     global_buffer
      - .actual_access:  read_only
        .address_space:  global
        .offset:         24
        .size:           8
        .value_kind:     global_buffer
      - .offset:         32
        .size:           4
        .value_kind:     by_value
      - .actual_access:  read_only
        .address_space:  global
        .offset:         40
        .size:           8
        .value_kind:     global_buffer
      - .actual_access:  read_only
        .address_space:  global
        .offset:         48
        .size:           8
        .value_kind:     global_buffer
      - .actual_access:  read_only
        .address_space:  global
        .offset:         56
        .size:           8
        .value_kind:     global_buffer
      - .actual_access:  read_only
        .address_space:  global
        .offset:         64
        .size:           8
        .value_kind:     global_buffer
      - .actual_access:  read_only
        .address_space:  global
        .offset:         72
        .size:           8
        .value_kind:     global_buffer
      - .actual_access:  read_only
        .address_space:  global
        .offset:         80
        .size:           8
        .value_kind:     global_buffer
      - .actual_access:  read_only
        .address_space:  global
        .offset:         88
        .size:           8
        .value_kind:     global_buffer
      - .address_space:  global
        .offset:         96
        .size:           8
        .value_kind:     global_buffer
      - .address_space:  global
        .offset:         104
        .size:           8
        .value_kind:     global_buffer
      - .address_space:  global
        .offset:         112
        .size:           8
        .value_kind:     global_buffer
    .group_segment_fixed_size: 64
    .kernarg_segment_align: 8
    .kernarg_segment_size: 120
    .language:       OpenCL C
    .language_version:
      - 2
      - 0
    .max_flat_workgroup_size: 1024
    .name:           _ZN9rocsparseL20kernel_calculate_cooILi1024ELi64ELb1E21rocsparse_complex_numIfEiiEEvT4_T3_PKS3_S6_PKT2_21rocsparse_index_base_PKS4_SC_S6_SC_SC_S6_SC_PS7_PNS_15floating_traitsIS7_E6data_tEPKSG_
    .private_segment_fixed_size: 0
    .sgpr_count:     56
    .sgpr_spill_count: 0
    .symbol:         _ZN9rocsparseL20kernel_calculate_cooILi1024ELi64ELb1E21rocsparse_complex_numIfEiiEEvT4_T3_PKS3_S6_PKT2_21rocsparse_index_base_PKS4_SC_S6_SC_SC_S6_SC_PS7_PNS_15floating_traitsIS7_E6data_tEPKSG_.kd
    .uniform_work_group_size: 1
    .uses_dynamic_stack: false
    .vgpr_count:     28
    .vgpr_spill_count: 0
    .wavefront_size: 64
  - .agpr_count:     0
    .args:
      - .offset:         0
        .size:           4
        .value_kind:     by_value
      - .offset:         4
        .size:           4
        .value_kind:     by_value
      - .actual_access:  read_only
        .address_space:  global
        .offset:         8
        .size:           8
        .value_kind:     global_buffer
      - .actual_access:  read_only
        .address_space:  global
        .offset:         16
        .size:           8
        .value_kind:     global_buffer
      - .actual_access:  read_only
        .address_space:  global
        .offset:         24
        .size:           8
        .value_kind:     global_buffer
      - .actual_access:  read_only
        .address_space:  global
        .offset:         32
        .size:           8
        .value_kind:     global_buffer
      - .offset:         40
        .size:           4
        .value_kind:     by_value
      - .actual_access:  read_only
        .address_space:  global
        .offset:         48
        .size:           8
        .value_kind:     global_buffer
      - .actual_access:  read_only
        .address_space:  global
        .offset:         56
        .size:           8
        .value_kind:     global_buffer
      - .actual_access:  read_only
        .address_space:  global
        .offset:         64
        .size:           8
        .value_kind:     global_buffer
      - .actual_access:  read_only
        .address_space:  global
        .offset:         72
        .size:           8
        .value_kind:     global_buffer
      - .actual_access:  read_only
        .address_space:  global
        .offset:         80
        .size:           8
        .value_kind:     global_buffer
      - .actual_access:  read_only
        .address_space:  global
        .offset:         88
        .size:           8
        .value_kind:     global_buffer
      - .actual_access:  read_only
        .address_space:  global
        .offset:         96
        .size:           8
        .value_kind:     global_buffer
      - .address_space:  global
        .offset:         104
        .size:           8
        .value_kind:     global_buffer
      - .address_space:  global
        .offset:         112
        .size:           8
        .value_kind:     global_buffer
      - .address_space:  global
        .offset:         120
        .size:           8
        .value_kind:     global_buffer
    .group_segment_fixed_size: 4096
    .kernarg_segment_align: 8
    .kernarg_segment_size: 128
    .language:       OpenCL C
    .language_version:
      - 2
      - 0
    .max_flat_workgroup_size: 1024
    .name:           _ZN9rocsparseL16kernel_calculateILi1024ELi1ELb1E21rocsparse_complex_numIfEiiEEvT4_T3_PKS4_S6_PKS3_PKT2_21rocsparse_index_base_S6_S6_S8_S6_S6_S8_S6_PS9_PNS_15floating_traitsIS9_E6data_tEPKSG_
    .private_segment_fixed_size: 0
    .sgpr_count:     54
    .sgpr_spill_count: 0
    .symbol:         _ZN9rocsparseL16kernel_calculateILi1024ELi1ELb1E21rocsparse_complex_numIfEiiEEvT4_T3_PKS4_S6_PKS3_PKT2_21rocsparse_index_base_S6_S6_S8_S6_S6_S8_S6_PS9_PNS_15floating_traitsIS9_E6data_tEPKSG_.kd
    .uniform_work_group_size: 1
    .uses_dynamic_stack: false
    .vgpr_count:     30
    .vgpr_spill_count: 0
    .wavefront_size: 64
  - .agpr_count:     0
    .args:
      - .offset:         0
        .size:           4
        .value_kind:     by_value
      - .offset:         4
        .size:           4
        .value_kind:     by_value
      - .actual_access:  read_only
        .address_space:  global
        .offset:         8
        .size:           8
        .value_kind:     global_buffer
      - .actual_access:  read_only
        .address_space:  global
        .offset:         16
        .size:           8
        .value_kind:     global_buffer
      - .actual_access:  read_only
        .address_space:  global
        .offset:         24
        .size:           8
        .value_kind:     global_buffer
      - .actual_access:  read_only
        .address_space:  global
        .offset:         32
        .size:           8
        .value_kind:     global_buffer
      - .offset:         40
        .size:           4
        .value_kind:     by_value
      - .actual_access:  read_only
        .address_space:  global
        .offset:         48
        .size:           8
        .value_kind:     global_buffer
      - .actual_access:  read_only
        .address_space:  global
        .offset:         56
        .size:           8
        .value_kind:     global_buffer
      - .actual_access:  read_only
        .address_space:  global
        .offset:         64
        .size:           8
        .value_kind:     global_buffer
      - .actual_access:  read_only
        .address_space:  global
        .offset:         72
        .size:           8
        .value_kind:     global_buffer
      - .actual_access:  read_only
        .address_space:  global
        .offset:         80
        .size:           8
        .value_kind:     global_buffer
      - .actual_access:  read_only
        .address_space:  global
        .offset:         88
        .size:           8
        .value_kind:     global_buffer
      - .actual_access:  read_only
        .address_space:  global
        .offset:         96
        .size:           8
        .value_kind:     global_buffer
      - .address_space:  global
        .offset:         104
        .size:           8
        .value_kind:     global_buffer
      - .address_space:  global
        .offset:         112
        .size:           8
        .value_kind:     global_buffer
      - .address_space:  global
        .offset:         120
        .size:           8
        .value_kind:     global_buffer
    .group_segment_fixed_size: 2048
    .kernarg_segment_align: 8
    .kernarg_segment_size: 128
    .language:       OpenCL C
    .language_version:
      - 2
      - 0
    .max_flat_workgroup_size: 1024
    .name:           _ZN9rocsparseL16kernel_calculateILi1024ELi2ELb1E21rocsparse_complex_numIfEiiEEvT4_T3_PKS4_S6_PKS3_PKT2_21rocsparse_index_base_S6_S6_S8_S6_S6_S8_S6_PS9_PNS_15floating_traitsIS9_E6data_tEPKSG_
    .private_segment_fixed_size: 0
    .sgpr_count:     64
    .sgpr_spill_count: 0
    .symbol:         _ZN9rocsparseL16kernel_calculateILi1024ELi2ELb1E21rocsparse_complex_numIfEiiEEvT4_T3_PKS4_S6_PKS3_PKT2_21rocsparse_index_base_S6_S6_S8_S6_S6_S8_S6_PS9_PNS_15floating_traitsIS9_E6data_tEPKSG_.kd
    .uniform_work_group_size: 1
    .uses_dynamic_stack: false
    .vgpr_count:     34
    .vgpr_spill_count: 0
    .wavefront_size: 64
  - .agpr_count:     0
    .args:
      - .offset:         0
        .size:           4
        .value_kind:     by_value
      - .offset:         4
        .size:           4
        .value_kind:     by_value
      - .actual_access:  read_only
        .address_space:  global
        .offset:         8
        .size:           8
        .value_kind:     global_buffer
      - .actual_access:  read_only
        .address_space:  global
        .offset:         16
        .size:           8
        .value_kind:     global_buffer
      - .actual_access:  read_only
        .address_space:  global
        .offset:         24
        .size:           8
        .value_kind:     global_buffer
      - .actual_access:  read_only
        .address_space:  global
        .offset:         32
        .size:           8
        .value_kind:     global_buffer
      - .offset:         40
        .size:           4
        .value_kind:     by_value
      - .actual_access:  read_only
        .address_space:  global
        .offset:         48
        .size:           8
        .value_kind:     global_buffer
      - .actual_access:  read_only
        .address_space:  global
        .offset:         56
        .size:           8
        .value_kind:     global_buffer
      - .actual_access:  read_only
        .address_space:  global
        .offset:         64
        .size:           8
        .value_kind:     global_buffer
      - .actual_access:  read_only
        .address_space:  global
        .offset:         72
        .size:           8
        .value_kind:     global_buffer
      - .actual_access:  read_only
        .address_space:  global
        .offset:         80
        .size:           8
        .value_kind:     global_buffer
      - .actual_access:  read_only
        .address_space:  global
        .offset:         88
        .size:           8
        .value_kind:     global_buffer
      - .actual_access:  read_only
        .address_space:  global
        .offset:         96
        .size:           8
        .value_kind:     global_buffer
      - .address_space:  global
        .offset:         104
        .size:           8
        .value_kind:     global_buffer
      - .address_space:  global
        .offset:         112
        .size:           8
        .value_kind:     global_buffer
      - .address_space:  global
        .offset:         120
        .size:           8
        .value_kind:     global_buffer
    .group_segment_fixed_size: 1024
    .kernarg_segment_align: 8
    .kernarg_segment_size: 128
    .language:       OpenCL C
    .language_version:
      - 2
      - 0
    .max_flat_workgroup_size: 1024
    .name:           _ZN9rocsparseL16kernel_calculateILi1024ELi4ELb1E21rocsparse_complex_numIfEiiEEvT4_T3_PKS4_S6_PKS3_PKT2_21rocsparse_index_base_S6_S6_S8_S6_S6_S8_S6_PS9_PNS_15floating_traitsIS9_E6data_tEPKSG_
    .private_segment_fixed_size: 0
    .sgpr_count:     64
    .sgpr_spill_count: 0
    .symbol:         _ZN9rocsparseL16kernel_calculateILi1024ELi4ELb1E21rocsparse_complex_numIfEiiEEvT4_T3_PKS4_S6_PKS3_PKT2_21rocsparse_index_base_S6_S6_S8_S6_S6_S8_S6_PS9_PNS_15floating_traitsIS9_E6data_tEPKSG_.kd
    .uniform_work_group_size: 1
    .uses_dynamic_stack: false
    .vgpr_count:     34
    .vgpr_spill_count: 0
    .wavefront_size: 64
  - .agpr_count:     0
    .args:
      - .offset:         0
        .size:           4
        .value_kind:     by_value
      - .offset:         4
        .size:           4
        .value_kind:     by_value
      - .actual_access:  read_only
        .address_space:  global
        .offset:         8
        .size:           8
        .value_kind:     global_buffer
      - .actual_access:  read_only
        .address_space:  global
        .offset:         16
        .size:           8
        .value_kind:     global_buffer
      - .actual_access:  read_only
        .address_space:  global
        .offset:         24
        .size:           8
        .value_kind:     global_buffer
      - .actual_access:  read_only
        .address_space:  global
        .offset:         32
        .size:           8
        .value_kind:     global_buffer
      - .offset:         40
        .size:           4
        .value_kind:     by_value
      - .actual_access:  read_only
        .address_space:  global
        .offset:         48
        .size:           8
        .value_kind:     global_buffer
      - .actual_access:  read_only
        .address_space:  global
        .offset:         56
        .size:           8
        .value_kind:     global_buffer
      - .actual_access:  read_only
        .address_space:  global
        .offset:         64
        .size:           8
        .value_kind:     global_buffer
      - .actual_access:  read_only
        .address_space:  global
        .offset:         72
        .size:           8
        .value_kind:     global_buffer
      - .actual_access:  read_only
        .address_space:  global
        .offset:         80
        .size:           8
        .value_kind:     global_buffer
      - .actual_access:  read_only
        .address_space:  global
        .offset:         88
        .size:           8
        .value_kind:     global_buffer
      - .actual_access:  read_only
        .address_space:  global
        .offset:         96
        .size:           8
        .value_kind:     global_buffer
      - .address_space:  global
        .offset:         104
        .size:           8
        .value_kind:     global_buffer
      - .address_space:  global
        .offset:         112
        .size:           8
        .value_kind:     global_buffer
      - .address_space:  global
        .offset:         120
        .size:           8
        .value_kind:     global_buffer
    .group_segment_fixed_size: 512
    .kernarg_segment_align: 8
    .kernarg_segment_size: 128
    .language:       OpenCL C
    .language_version:
      - 2
      - 0
    .max_flat_workgroup_size: 1024
    .name:           _ZN9rocsparseL16kernel_calculateILi1024ELi8ELb1E21rocsparse_complex_numIfEiiEEvT4_T3_PKS4_S6_PKS3_PKT2_21rocsparse_index_base_S6_S6_S8_S6_S6_S8_S6_PS9_PNS_15floating_traitsIS9_E6data_tEPKSG_
    .private_segment_fixed_size: 0
    .sgpr_count:     64
    .sgpr_spill_count: 0
    .symbol:         _ZN9rocsparseL16kernel_calculateILi1024ELi8ELb1E21rocsparse_complex_numIfEiiEEvT4_T3_PKS4_S6_PKS3_PKT2_21rocsparse_index_base_S6_S6_S8_S6_S6_S8_S6_PS9_PNS_15floating_traitsIS9_E6data_tEPKSG_.kd
    .uniform_work_group_size: 1
    .uses_dynamic_stack: false
    .vgpr_count:     34
    .vgpr_spill_count: 0
    .wavefront_size: 64
  - .agpr_count:     0
    .args:
      - .offset:         0
        .size:           4
        .value_kind:     by_value
      - .offset:         4
        .size:           4
        .value_kind:     by_value
      - .actual_access:  read_only
        .address_space:  global
        .offset:         8
        .size:           8
        .value_kind:     global_buffer
      - .actual_access:  read_only
        .address_space:  global
        .offset:         16
        .size:           8
        .value_kind:     global_buffer
      - .actual_access:  read_only
        .address_space:  global
        .offset:         24
        .size:           8
        .value_kind:     global_buffer
      - .actual_access:  read_only
        .address_space:  global
        .offset:         32
        .size:           8
        .value_kind:     global_buffer
      - .offset:         40
        .size:           4
        .value_kind:     by_value
      - .actual_access:  read_only
        .address_space:  global
        .offset:         48
        .size:           8
        .value_kind:     global_buffer
      - .actual_access:  read_only
        .address_space:  global
        .offset:         56
        .size:           8
        .value_kind:     global_buffer
      - .actual_access:  read_only
        .address_space:  global
        .offset:         64
        .size:           8
        .value_kind:     global_buffer
      - .actual_access:  read_only
        .address_space:  global
        .offset:         72
        .size:           8
        .value_kind:     global_buffer
      - .actual_access:  read_only
        .address_space:  global
        .offset:         80
        .size:           8
        .value_kind:     global_buffer
      - .actual_access:  read_only
        .address_space:  global
        .offset:         88
        .size:           8
        .value_kind:     global_buffer
      - .actual_access:  read_only
        .address_space:  global
        .offset:         96
        .size:           8
        .value_kind:     global_buffer
      - .address_space:  global
        .offset:         104
        .size:           8
        .value_kind:     global_buffer
      - .address_space:  global
        .offset:         112
        .size:           8
        .value_kind:     global_buffer
      - .address_space:  global
        .offset:         120
        .size:           8
        .value_kind:     global_buffer
    .group_segment_fixed_size: 256
    .kernarg_segment_align: 8
    .kernarg_segment_size: 128
    .language:       OpenCL C
    .language_version:
      - 2
      - 0
    .max_flat_workgroup_size: 1024
    .name:           _ZN9rocsparseL16kernel_calculateILi1024ELi16ELb1E21rocsparse_complex_numIfEiiEEvT4_T3_PKS4_S6_PKS3_PKT2_21rocsparse_index_base_S6_S6_S8_S6_S6_S8_S6_PS9_PNS_15floating_traitsIS9_E6data_tEPKSG_
    .private_segment_fixed_size: 0
    .sgpr_count:     64
    .sgpr_spill_count: 0
    .symbol:         _ZN9rocsparseL16kernel_calculateILi1024ELi16ELb1E21rocsparse_complex_numIfEiiEEvT4_T3_PKS4_S6_PKS3_PKT2_21rocsparse_index_base_S6_S6_S8_S6_S6_S8_S6_PS9_PNS_15floating_traitsIS9_E6data_tEPKSG_.kd
    .uniform_work_group_size: 1
    .uses_dynamic_stack: false
    .vgpr_count:     34
    .vgpr_spill_count: 0
    .wavefront_size: 64
  - .agpr_count:     0
    .args:
      - .offset:         0
        .size:           4
        .value_kind:     by_value
      - .offset:         4
        .size:           4
        .value_kind:     by_value
      - .actual_access:  read_only
        .address_space:  global
        .offset:         8
        .size:           8
        .value_kind:     global_buffer
      - .actual_access:  read_only
        .address_space:  global
        .offset:         16
        .size:           8
        .value_kind:     global_buffer
      - .actual_access:  read_only
        .address_space:  global
        .offset:         24
        .size:           8
        .value_kind:     global_buffer
      - .actual_access:  read_only
        .address_space:  global
        .offset:         32
        .size:           8
        .value_kind:     global_buffer
      - .offset:         40
        .size:           4
        .value_kind:     by_value
      - .actual_access:  read_only
        .address_space:  global
        .offset:         48
        .size:           8
        .value_kind:     global_buffer
      - .actual_access:  read_only
        .address_space:  global
        .offset:         56
        .size:           8
        .value_kind:     global_buffer
      - .actual_access:  read_only
        .address_space:  global
        .offset:         64
        .size:           8
        .value_kind:     global_buffer
      - .actual_access:  read_only
        .address_space:  global
        .offset:         72
        .size:           8
        .value_kind:     global_buffer
      - .actual_access:  read_only
        .address_space:  global
        .offset:         80
        .size:           8
        .value_kind:     global_buffer
      - .actual_access:  read_only
        .address_space:  global
        .offset:         88
        .size:           8
        .value_kind:     global_buffer
      - .actual_access:  read_only
        .address_space:  global
        .offset:         96
        .size:           8
        .value_kind:     global_buffer
      - .address_space:  global
        .offset:         104
        .size:           8
        .value_kind:     global_buffer
      - .address_space:  global
        .offset:         112
        .size:           8
        .value_kind:     global_buffer
      - .address_space:  global
        .offset:         120
        .size:           8
        .value_kind:     global_buffer
    .group_segment_fixed_size: 128
    .kernarg_segment_align: 8
    .kernarg_segment_size: 128
    .language:       OpenCL C
    .language_version:
      - 2
      - 0
    .max_flat_workgroup_size: 1024
    .name:           _ZN9rocsparseL16kernel_calculateILi1024ELi32ELb1E21rocsparse_complex_numIfEiiEEvT4_T3_PKS4_S6_PKS3_PKT2_21rocsparse_index_base_S6_S6_S8_S6_S6_S8_S6_PS9_PNS_15floating_traitsIS9_E6data_tEPKSG_
    .private_segment_fixed_size: 0
    .sgpr_count:     64
    .sgpr_spill_count: 0
    .symbol:         _ZN9rocsparseL16kernel_calculateILi1024ELi32ELb1E21rocsparse_complex_numIfEiiEEvT4_T3_PKS4_S6_PKS3_PKT2_21rocsparse_index_base_S6_S6_S8_S6_S6_S8_S6_PS9_PNS_15floating_traitsIS9_E6data_tEPKSG_.kd
    .uniform_work_group_size: 1
    .uses_dynamic_stack: false
    .vgpr_count:     34
    .vgpr_spill_count: 0
    .wavefront_size: 64
  - .agpr_count:     0
    .args:
      - .offset:         0
        .size:           4
        .value_kind:     by_value
      - .offset:         4
        .size:           4
        .value_kind:     by_value
      - .actual_access:  read_only
        .address_space:  global
        .offset:         8
        .size:           8
        .value_kind:     global_buffer
      - .actual_access:  read_only
        .address_space:  global
        .offset:         16
        .size:           8
        .value_kind:     global_buffer
      - .actual_access:  read_only
        .address_space:  global
        .offset:         24
        .size:           8
        .value_kind:     global_buffer
      - .actual_access:  read_only
        .address_space:  global
        .offset:         32
        .size:           8
        .value_kind:     global_buffer
      - .offset:         40
        .size:           4
        .value_kind:     by_value
      - .actual_access:  read_only
        .address_space:  global
        .offset:         48
        .size:           8
        .value_kind:     global_buffer
      - .actual_access:  read_only
        .address_space:  global
        .offset:         56
        .size:           8
        .value_kind:     global_buffer
      - .actual_access:  read_only
        .address_space:  global
        .offset:         64
        .size:           8
        .value_kind:     global_buffer
      - .actual_access:  read_only
        .address_space:  global
        .offset:         72
        .size:           8
        .value_kind:     global_buffer
      - .actual_access:  read_only
        .address_space:  global
        .offset:         80
        .size:           8
        .value_kind:     global_buffer
      - .actual_access:  read_only
        .address_space:  global
        .offset:         88
        .size:           8
        .value_kind:     global_buffer
      - .actual_access:  read_only
        .address_space:  global
        .offset:         96
        .size:           8
        .value_kind:     global_buffer
      - .address_space:  global
        .offset:         104
        .size:           8
        .value_kind:     global_buffer
      - .address_space:  global
        .offset:         112
        .size:           8
        .value_kind:     global_buffer
      - .address_space:  global
        .offset:         120
        .size:           8
        .value_kind:     global_buffer
    .group_segment_fixed_size: 64
    .kernarg_segment_align: 8
    .kernarg_segment_size: 128
    .language:       OpenCL C
    .language_version:
      - 2
      - 0
    .max_flat_workgroup_size: 1024
    .name:           _ZN9rocsparseL16kernel_calculateILi1024ELi64ELb1E21rocsparse_complex_numIfEiiEEvT4_T3_PKS4_S6_PKS3_PKT2_21rocsparse_index_base_S6_S6_S8_S6_S6_S8_S6_PS9_PNS_15floating_traitsIS9_E6data_tEPKSG_
    .private_segment_fixed_size: 0
    .sgpr_count:     64
    .sgpr_spill_count: 0
    .symbol:         _ZN9rocsparseL16kernel_calculateILi1024ELi64ELb1E21rocsparse_complex_numIfEiiEEvT4_T3_PKS4_S6_PKS3_PKT2_21rocsparse_index_base_S6_S6_S8_S6_S6_S8_S6_PS9_PNS_15floating_traitsIS9_E6data_tEPKSG_.kd
    .uniform_work_group_size: 1
    .uses_dynamic_stack: false
    .vgpr_count:     34
    .vgpr_spill_count: 0
    .wavefront_size: 64
  - .agpr_count:     0
    .args:
      - .offset:         0
        .size:           4
        .value_kind:     by_value
      - .offset:         4
        .size:           4
        .value_kind:     by_value
      - .actual_access:  read_only
        .address_space:  global
        .offset:         8
        .size:           8
        .value_kind:     global_buffer
      - .actual_access:  read_only
        .address_space:  global
        .offset:         16
        .size:           8
        .value_kind:     global_buffer
      - .actual_access:  read_only
        .address_space:  global
        .offset:         24
        .size:           8
        .value_kind:     global_buffer
      - .actual_access:  read_only
        .address_space:  global
        .offset:         32
        .size:           8
        .value_kind:     global_buffer
      - .offset:         40
        .size:           4
        .value_kind:     by_value
      - .actual_access:  read_only
        .address_space:  global
        .offset:         48
        .size:           8
        .value_kind:     global_buffer
      - .actual_access:  read_only
        .address_space:  global
        .offset:         56
        .size:           8
        .value_kind:     global_buffer
      - .actual_access:  read_only
        .address_space:  global
        .offset:         64
        .size:           8
        .value_kind:     global_buffer
      - .actual_access:  read_only
        .address_space:  global
        .offset:         72
        .size:           8
        .value_kind:     global_buffer
      - .actual_access:  read_only
        .address_space:  global
        .offset:         80
        .size:           8
        .value_kind:     global_buffer
      - .actual_access:  read_only
        .address_space:  global
        .offset:         88
        .size:           8
        .value_kind:     global_buffer
      - .actual_access:  read_only
        .address_space:  global
        .offset:         96
        .size:           8
        .value_kind:     global_buffer
      - .address_space:  global
        .offset:         104
        .size:           8
        .value_kind:     global_buffer
      - .address_space:  global
        .offset:         112
        .size:           8
        .value_kind:     global_buffer
      - .address_space:  global
        .offset:         120
        .size:           8
        .value_kind:     global_buffer
    .group_segment_fixed_size: 0
    .kernarg_segment_align: 8
    .kernarg_segment_size: 128
    .language:       OpenCL C
    .language_version:
      - 2
      - 0
    .max_flat_workgroup_size: 1024
    .name:           _ZN9rocsparseL16kernel_calculateILi1024ELi1ELb0E21rocsparse_complex_numIfEiiEEvT4_T3_PKS4_S6_PKS3_PKT2_21rocsparse_index_base_S6_S6_S8_S6_S6_S8_S6_PS9_PNS_15floating_traitsIS9_E6data_tEPKSG_
    .private_segment_fixed_size: 0
    .sgpr_count:     37
    .sgpr_spill_count: 0
    .symbol:         _ZN9rocsparseL16kernel_calculateILi1024ELi1ELb0E21rocsparse_complex_numIfEiiEEvT4_T3_PKS4_S6_PKS3_PKT2_21rocsparse_index_base_S6_S6_S8_S6_S6_S8_S6_PS9_PNS_15floating_traitsIS9_E6data_tEPKSG_.kd
    .uniform_work_group_size: 1
    .uses_dynamic_stack: false
    .vgpr_count:     28
    .vgpr_spill_count: 0
    .wavefront_size: 64
  - .agpr_count:     0
    .args:
      - .offset:         0
        .size:           4
        .value_kind:     by_value
      - .offset:         4
        .size:           4
        .value_kind:     by_value
      - .actual_access:  read_only
        .address_space:  global
        .offset:         8
        .size:           8
        .value_kind:     global_buffer
      - .actual_access:  read_only
        .address_space:  global
        .offset:         16
        .size:           8
        .value_kind:     global_buffer
      - .actual_access:  read_only
        .address_space:  global
        .offset:         24
        .size:           8
        .value_kind:     global_buffer
      - .actual_access:  read_only
        .address_space:  global
        .offset:         32
        .size:           8
        .value_kind:     global_buffer
      - .offset:         40
        .size:           4
        .value_kind:     by_value
      - .actual_access:  read_only
        .address_space:  global
        .offset:         48
        .size:           8
        .value_kind:     global_buffer
      - .actual_access:  read_only
        .address_space:  global
        .offset:         56
        .size:           8
        .value_kind:     global_buffer
      - .actual_access:  read_only
        .address_space:  global
        .offset:         64
        .size:           8
        .value_kind:     global_buffer
      - .actual_access:  read_only
        .address_space:  global
        .offset:         72
        .size:           8
        .value_kind:     global_buffer
      - .actual_access:  read_only
        .address_space:  global
        .offset:         80
        .size:           8
        .value_kind:     global_buffer
      - .actual_access:  read_only
        .address_space:  global
        .offset:         88
        .size:           8
        .value_kind:     global_buffer
      - .actual_access:  read_only
        .address_space:  global
        .offset:         96
        .size:           8
        .value_kind:     global_buffer
      - .address_space:  global
        .offset:         104
        .size:           8
        .value_kind:     global_buffer
      - .address_space:  global
        .offset:         112
        .size:           8
        .value_kind:     global_buffer
      - .address_space:  global
        .offset:         120
        .size:           8
        .value_kind:     global_buffer
    .group_segment_fixed_size: 0
    .kernarg_segment_align: 8
    .kernarg_segment_size: 128
    .language:       OpenCL C
    .language_version:
      - 2
      - 0
    .max_flat_workgroup_size: 1024
    .name:           _ZN9rocsparseL16kernel_calculateILi1024ELi2ELb0E21rocsparse_complex_numIfEiiEEvT4_T3_PKS4_S6_PKS3_PKT2_21rocsparse_index_base_S6_S6_S8_S6_S6_S8_S6_PS9_PNS_15floating_traitsIS9_E6data_tEPKSG_
    .private_segment_fixed_size: 0
    .sgpr_count:     43
    .sgpr_spill_count: 0
    .symbol:         _ZN9rocsparseL16kernel_calculateILi1024ELi2ELb0E21rocsparse_complex_numIfEiiEEvT4_T3_PKS4_S6_PKS3_PKT2_21rocsparse_index_base_S6_S6_S8_S6_S6_S8_S6_PS9_PNS_15floating_traitsIS9_E6data_tEPKSG_.kd
    .uniform_work_group_size: 1
    .uses_dynamic_stack: false
    .vgpr_count:     34
    .vgpr_spill_count: 0
    .wavefront_size: 64
  - .agpr_count:     0
    .args:
      - .offset:         0
        .size:           4
        .value_kind:     by_value
      - .offset:         4
        .size:           4
        .value_kind:     by_value
      - .actual_access:  read_only
        .address_space:  global
        .offset:         8
        .size:           8
        .value_kind:     global_buffer
      - .actual_access:  read_only
        .address_space:  global
        .offset:         16
        .size:           8
        .value_kind:     global_buffer
      - .actual_access:  read_only
        .address_space:  global
        .offset:         24
        .size:           8
        .value_kind:     global_buffer
      - .actual_access:  read_only
        .address_space:  global
        .offset:         32
        .size:           8
        .value_kind:     global_buffer
      - .offset:         40
        .size:           4
        .value_kind:     by_value
      - .actual_access:  read_only
        .address_space:  global
        .offset:         48
        .size:           8
        .value_kind:     global_buffer
      - .actual_access:  read_only
        .address_space:  global
        .offset:         56
        .size:           8
        .value_kind:     global_buffer
      - .actual_access:  read_only
        .address_space:  global
        .offset:         64
        .size:           8
        .value_kind:     global_buffer
      - .actual_access:  read_only
        .address_space:  global
        .offset:         72
        .size:           8
        .value_kind:     global_buffer
      - .actual_access:  read_only
        .address_space:  global
        .offset:         80
        .size:           8
        .value_kind:     global_buffer
      - .actual_access:  read_only
        .address_space:  global
        .offset:         88
        .size:           8
        .value_kind:     global_buffer
      - .actual_access:  read_only
        .address_space:  global
        .offset:         96
        .size:           8
        .value_kind:     global_buffer
      - .address_space:  global
        .offset:         104
        .size:           8
        .value_kind:     global_buffer
      - .address_space:  global
        .offset:         112
        .size:           8
        .value_kind:     global_buffer
      - .address_space:  global
        .offset:         120
        .size:           8
        .value_kind:     global_buffer
    .group_segment_fixed_size: 0
    .kernarg_segment_align: 8
    .kernarg_segment_size: 128
    .language:       OpenCL C
    .language_version:
      - 2
      - 0
    .max_flat_workgroup_size: 1024
    .name:           _ZN9rocsparseL16kernel_calculateILi1024ELi4ELb0E21rocsparse_complex_numIfEiiEEvT4_T3_PKS4_S6_PKS3_PKT2_21rocsparse_index_base_S6_S6_S8_S6_S6_S8_S6_PS9_PNS_15floating_traitsIS9_E6data_tEPKSG_
    .private_segment_fixed_size: 0
    .sgpr_count:     48
    .sgpr_spill_count: 0
    .symbol:         _ZN9rocsparseL16kernel_calculateILi1024ELi4ELb0E21rocsparse_complex_numIfEiiEEvT4_T3_PKS4_S6_PKS3_PKT2_21rocsparse_index_base_S6_S6_S8_S6_S6_S8_S6_PS9_PNS_15floating_traitsIS9_E6data_tEPKSG_.kd
    .uniform_work_group_size: 1
    .uses_dynamic_stack: false
    .vgpr_count:     30
    .vgpr_spill_count: 0
    .wavefront_size: 64
  - .agpr_count:     0
    .args:
      - .offset:         0
        .size:           4
        .value_kind:     by_value
      - .offset:         4
        .size:           4
        .value_kind:     by_value
      - .actual_access:  read_only
        .address_space:  global
        .offset:         8
        .size:           8
        .value_kind:     global_buffer
      - .actual_access:  read_only
        .address_space:  global
        .offset:         16
        .size:           8
        .value_kind:     global_buffer
      - .actual_access:  read_only
        .address_space:  global
        .offset:         24
        .size:           8
        .value_kind:     global_buffer
      - .actual_access:  read_only
        .address_space:  global
        .offset:         32
        .size:           8
        .value_kind:     global_buffer
      - .offset:         40
        .size:           4
        .value_kind:     by_value
      - .actual_access:  read_only
        .address_space:  global
        .offset:         48
        .size:           8
        .value_kind:     global_buffer
      - .actual_access:  read_only
        .address_space:  global
        .offset:         56
        .size:           8
        .value_kind:     global_buffer
      - .actual_access:  read_only
        .address_space:  global
        .offset:         64
        .size:           8
        .value_kind:     global_buffer
      - .actual_access:  read_only
        .address_space:  global
        .offset:         72
        .size:           8
        .value_kind:     global_buffer
      - .actual_access:  read_only
        .address_space:  global
        .offset:         80
        .size:           8
        .value_kind:     global_buffer
      - .actual_access:  read_only
        .address_space:  global
        .offset:         88
        .size:           8
        .value_kind:     global_buffer
      - .actual_access:  read_only
        .address_space:  global
        .offset:         96
        .size:           8
        .value_kind:     global_buffer
      - .address_space:  global
        .offset:         104
        .size:           8
        .value_kind:     global_buffer
      - .address_space:  global
        .offset:         112
        .size:           8
        .value_kind:     global_buffer
      - .address_space:  global
        .offset:         120
        .size:           8
        .value_kind:     global_buffer
    .group_segment_fixed_size: 0
    .kernarg_segment_align: 8
    .kernarg_segment_size: 128
    .language:       OpenCL C
    .language_version:
      - 2
      - 0
    .max_flat_workgroup_size: 1024
    .name:           _ZN9rocsparseL16kernel_calculateILi1024ELi8ELb0E21rocsparse_complex_numIfEiiEEvT4_T3_PKS4_S6_PKS3_PKT2_21rocsparse_index_base_S6_S6_S8_S6_S6_S8_S6_PS9_PNS_15floating_traitsIS9_E6data_tEPKSG_
    .private_segment_fixed_size: 0
    .sgpr_count:     48
    .sgpr_spill_count: 0
    .symbol:         _ZN9rocsparseL16kernel_calculateILi1024ELi8ELb0E21rocsparse_complex_numIfEiiEEvT4_T3_PKS4_S6_PKS3_PKT2_21rocsparse_index_base_S6_S6_S8_S6_S6_S8_S6_PS9_PNS_15floating_traitsIS9_E6data_tEPKSG_.kd
    .uniform_work_group_size: 1
    .uses_dynamic_stack: false
    .vgpr_count:     30
    .vgpr_spill_count: 0
    .wavefront_size: 64
  - .agpr_count:     0
    .args:
      - .offset:         0
        .size:           4
        .value_kind:     by_value
      - .offset:         4
        .size:           4
        .value_kind:     by_value
      - .actual_access:  read_only
        .address_space:  global
        .offset:         8
        .size:           8
        .value_kind:     global_buffer
      - .actual_access:  read_only
        .address_space:  global
        .offset:         16
        .size:           8
        .value_kind:     global_buffer
      - .actual_access:  read_only
        .address_space:  global
        .offset:         24
        .size:           8
        .value_kind:     global_buffer
      - .actual_access:  read_only
        .address_space:  global
        .offset:         32
        .size:           8
        .value_kind:     global_buffer
      - .offset:         40
        .size:           4
        .value_kind:     by_value
      - .actual_access:  read_only
        .address_space:  global
        .offset:         48
        .size:           8
        .value_kind:     global_buffer
      - .actual_access:  read_only
        .address_space:  global
        .offset:         56
        .size:           8
        .value_kind:     global_buffer
      - .actual_access:  read_only
        .address_space:  global
        .offset:         64
        .size:           8
        .value_kind:     global_buffer
      - .actual_access:  read_only
        .address_space:  global
        .offset:         72
        .size:           8
        .value_kind:     global_buffer
      - .actual_access:  read_only
        .address_space:  global
        .offset:         80
        .size:           8
        .value_kind:     global_buffer
      - .actual_access:  read_only
        .address_space:  global
        .offset:         88
        .size:           8
        .value_kind:     global_buffer
      - .actual_access:  read_only
        .address_space:  global
        .offset:         96
        .size:           8
        .value_kind:     global_buffer
      - .address_space:  global
        .offset:         104
        .size:           8
        .value_kind:     global_buffer
      - .address_space:  global
        .offset:         112
        .size:           8
        .value_kind:     global_buffer
      - .address_space:  global
        .offset:         120
        .size:           8
        .value_kind:     global_buffer
    .group_segment_fixed_size: 0
    .kernarg_segment_align: 8
    .kernarg_segment_size: 128
    .language:       OpenCL C
    .language_version:
      - 2
      - 0
    .max_flat_workgroup_size: 1024
    .name:           _ZN9rocsparseL16kernel_calculateILi1024ELi16ELb0E21rocsparse_complex_numIfEiiEEvT4_T3_PKS4_S6_PKS3_PKT2_21rocsparse_index_base_S6_S6_S8_S6_S6_S8_S6_PS9_PNS_15floating_traitsIS9_E6data_tEPKSG_
    .private_segment_fixed_size: 0
    .sgpr_count:     48
    .sgpr_spill_count: 0
    .symbol:         _ZN9rocsparseL16kernel_calculateILi1024ELi16ELb0E21rocsparse_complex_numIfEiiEEvT4_T3_PKS4_S6_PKS3_PKT2_21rocsparse_index_base_S6_S6_S8_S6_S6_S8_S6_PS9_PNS_15floating_traitsIS9_E6data_tEPKSG_.kd
    .uniform_work_group_size: 1
    .uses_dynamic_stack: false
    .vgpr_count:     30
    .vgpr_spill_count: 0
    .wavefront_size: 64
  - .agpr_count:     0
    .args:
      - .offset:         0
        .size:           4
        .value_kind:     by_value
      - .offset:         4
        .size:           4
        .value_kind:     by_value
      - .actual_access:  read_only
        .address_space:  global
        .offset:         8
        .size:           8
        .value_kind:     global_buffer
      - .actual_access:  read_only
        .address_space:  global
        .offset:         16
        .size:           8
        .value_kind:     global_buffer
      - .actual_access:  read_only
        .address_space:  global
        .offset:         24
        .size:           8
        .value_kind:     global_buffer
      - .actual_access:  read_only
        .address_space:  global
        .offset:         32
        .size:           8
        .value_kind:     global_buffer
      - .offset:         40
        .size:           4
        .value_kind:     by_value
      - .actual_access:  read_only
        .address_space:  global
        .offset:         48
        .size:           8
        .value_kind:     global_buffer
      - .actual_access:  read_only
        .address_space:  global
        .offset:         56
        .size:           8
        .value_kind:     global_buffer
      - .actual_access:  read_only
        .address_space:  global
        .offset:         64
        .size:           8
        .value_kind:     global_buffer
      - .actual_access:  read_only
        .address_space:  global
        .offset:         72
        .size:           8
        .value_kind:     global_buffer
      - .actual_access:  read_only
        .address_space:  global
        .offset:         80
        .size:           8
        .value_kind:     global_buffer
      - .actual_access:  read_only
        .address_space:  global
        .offset:         88
        .size:           8
        .value_kind:     global_buffer
      - .actual_access:  read_only
        .address_space:  global
        .offset:         96
        .size:           8
        .value_kind:     global_buffer
      - .address_space:  global
        .offset:         104
        .size:           8
        .value_kind:     global_buffer
      - .address_space:  global
        .offset:         112
        .size:           8
        .value_kind:     global_buffer
      - .address_space:  global
        .offset:         120
        .size:           8
        .value_kind:     global_buffer
    .group_segment_fixed_size: 0
    .kernarg_segment_align: 8
    .kernarg_segment_size: 128
    .language:       OpenCL C
    .language_version:
      - 2
      - 0
    .max_flat_workgroup_size: 1024
    .name:           _ZN9rocsparseL16kernel_calculateILi1024ELi32ELb0E21rocsparse_complex_numIfEiiEEvT4_T3_PKS4_S6_PKS3_PKT2_21rocsparse_index_base_S6_S6_S8_S6_S6_S8_S6_PS9_PNS_15floating_traitsIS9_E6data_tEPKSG_
    .private_segment_fixed_size: 0
    .sgpr_count:     48
    .sgpr_spill_count: 0
    .symbol:         _ZN9rocsparseL16kernel_calculateILi1024ELi32ELb0E21rocsparse_complex_numIfEiiEEvT4_T3_PKS4_S6_PKS3_PKT2_21rocsparse_index_base_S6_S6_S8_S6_S6_S8_S6_PS9_PNS_15floating_traitsIS9_E6data_tEPKSG_.kd
    .uniform_work_group_size: 1
    .uses_dynamic_stack: false
    .vgpr_count:     30
    .vgpr_spill_count: 0
    .wavefront_size: 64
  - .agpr_count:     0
    .args:
      - .offset:         0
        .size:           4
        .value_kind:     by_value
      - .offset:         4
        .size:           4
        .value_kind:     by_value
      - .actual_access:  read_only
        .address_space:  global
        .offset:         8
        .size:           8
        .value_kind:     global_buffer
      - .actual_access:  read_only
        .address_space:  global
        .offset:         16
        .size:           8
        .value_kind:     global_buffer
      - .actual_access:  read_only
        .address_space:  global
        .offset:         24
        .size:           8
        .value_kind:     global_buffer
      - .actual_access:  read_only
        .address_space:  global
        .offset:         32
        .size:           8
        .value_kind:     global_buffer
      - .offset:         40
        .size:           4
        .value_kind:     by_value
      - .actual_access:  read_only
        .address_space:  global
        .offset:         48
        .size:           8
        .value_kind:     global_buffer
      - .actual_access:  read_only
        .address_space:  global
        .offset:         56
        .size:           8
        .value_kind:     global_buffer
      - .actual_access:  read_only
        .address_space:  global
        .offset:         64
        .size:           8
        .value_kind:     global_buffer
      - .actual_access:  read_only
        .address_space:  global
        .offset:         72
        .size:           8
        .value_kind:     global_buffer
      - .actual_access:  read_only
        .address_space:  global
        .offset:         80
        .size:           8
        .value_kind:     global_buffer
      - .actual_access:  read_only
        .address_space:  global
        .offset:         88
        .size:           8
        .value_kind:     global_buffer
      - .actual_access:  read_only
        .address_space:  global
        .offset:         96
        .size:           8
        .value_kind:     global_buffer
      - .address_space:  global
        .offset:         104
        .size:           8
        .value_kind:     global_buffer
      - .address_space:  global
        .offset:         112
        .size:           8
        .value_kind:     global_buffer
      - .address_space:  global
        .offset:         120
        .size:           8
        .value_kind:     global_buffer
    .group_segment_fixed_size: 0
    .kernarg_segment_align: 8
    .kernarg_segment_size: 128
    .language:       OpenCL C
    .language_version:
      - 2
      - 0
    .max_flat_workgroup_size: 1024
    .name:           _ZN9rocsparseL16kernel_calculateILi1024ELi64ELb0E21rocsparse_complex_numIfEiiEEvT4_T3_PKS4_S6_PKS3_PKT2_21rocsparse_index_base_S6_S6_S8_S6_S6_S8_S6_PS9_PNS_15floating_traitsIS9_E6data_tEPKSG_
    .private_segment_fixed_size: 0
    .sgpr_count:     48
    .sgpr_spill_count: 0
    .symbol:         _ZN9rocsparseL16kernel_calculateILi1024ELi64ELb0E21rocsparse_complex_numIfEiiEEvT4_T3_PKS4_S6_PKS3_PKT2_21rocsparse_index_base_S6_S6_S8_S6_S6_S8_S6_PS9_PNS_15floating_traitsIS9_E6data_tEPKSG_.kd
    .uniform_work_group_size: 1
    .uses_dynamic_stack: false
    .vgpr_count:     30
    .vgpr_spill_count: 0
    .wavefront_size: 64
  - .agpr_count:     0
    .args:
      - .offset:         0
        .size:           4
        .value_kind:     by_value
      - .offset:         4
        .size:           4
        .value_kind:     by_value
      - .actual_access:  read_only
        .address_space:  global
        .offset:         8
        .size:           8
        .value_kind:     global_buffer
      - .actual_access:  read_only
        .address_space:  global
        .offset:         16
        .size:           8
        .value_kind:     global_buffer
      - .actual_access:  read_only
        .address_space:  global
        .offset:         24
        .size:           8
        .value_kind:     global_buffer
      - .offset:         32
        .size:           4
        .value_kind:     by_value
      - .actual_access:  read_only
        .address_space:  global
        .offset:         40
        .size:           8
        .value_kind:     global_buffer
      - .actual_access:  read_only
        .address_space:  global
        .offset:         48
        .size:           8
        .value_kind:     global_buffer
      - .actual_access:  read_only
        .address_space:  global
        .offset:         56
        .size:           8
        .value_kind:     global_buffer
      - .actual_access:  read_only
        .address_space:  global
        .offset:         64
        .size:           8
        .value_kind:     global_buffer
      - .actual_access:  read_only
        .address_space:  global
        .offset:         72
        .size:           8
        .value_kind:     global_buffer
      - .actual_access:  read_only
        .address_space:  global
        .offset:         80
        .size:           8
        .value_kind:     global_buffer
      - .actual_access:  read_only
        .address_space:  global
        .offset:         88
        .size:           8
        .value_kind:     global_buffer
      - .address_space:  global
        .offset:         96
        .size:           8
        .value_kind:     global_buffer
      - .address_space:  global
        .offset:         104
        .size:           8
        .value_kind:     global_buffer
      - .address_space:  global
        .offset:         112
        .size:           8
        .value_kind:     global_buffer
    .group_segment_fixed_size: 0
    .kernarg_segment_align: 8
    .kernarg_segment_size: 120
    .language:       OpenCL C
    .language_version:
      - 2
      - 0
    .max_flat_workgroup_size: 1024
    .name:           _ZN9rocsparseL20kernel_calculate_cooILi1024ELi32ELb0E21rocsparse_complex_numIfEiiEEvT4_T3_PKS3_S6_PKT2_21rocsparse_index_base_PKS4_SC_S6_SC_SC_S6_SC_PS7_PNS_15floating_traitsIS7_E6data_tEPKSG_
    .private_segment_fixed_size: 0
    .sgpr_count:     42
    .sgpr_spill_count: 0
    .symbol:         _ZN9rocsparseL20kernel_calculate_cooILi1024ELi32ELb0E21rocsparse_complex_numIfEiiEEvT4_T3_PKS3_S6_PKT2_21rocsparse_index_base_PKS4_SC_S6_SC_SC_S6_SC_PS7_PNS_15floating_traitsIS7_E6data_tEPKSG_.kd
    .uniform_work_group_size: 1
    .uses_dynamic_stack: false
    .vgpr_count:     26
    .vgpr_spill_count: 0
    .wavefront_size: 64
  - .agpr_count:     0
    .args:
      - .offset:         0
        .size:           4
        .value_kind:     by_value
      - .offset:         4
        .size:           4
        .value_kind:     by_value
      - .actual_access:  read_only
        .address_space:  global
        .offset:         8
        .size:           8
        .value_kind:     global_buffer
      - .actual_access:  read_only
        .address_space:  global
        .offset:         16
        .size:           8
        .value_kind:     global_buffer
      - .actual_access:  read_only
        .address_space:  global
        .offset:         24
        .size:           8
        .value_kind:     global_buffer
      - .offset:         32
        .size:           4
        .value_kind:     by_value
      - .actual_access:  read_only
        .address_space:  global
        .offset:         40
        .size:           8
        .value_kind:     global_buffer
      - .actual_access:  read_only
        .address_space:  global
        .offset:         48
        .size:           8
        .value_kind:     global_buffer
      - .actual_access:  read_only
        .address_space:  global
        .offset:         56
        .size:           8
        .value_kind:     global_buffer
      - .actual_access:  read_only
        .address_space:  global
        .offset:         64
        .size:           8
        .value_kind:     global_buffer
      - .actual_access:  read_only
        .address_space:  global
        .offset:         72
        .size:           8
        .value_kind:     global_buffer
      - .actual_access:  read_only
        .address_space:  global
        .offset:         80
        .size:           8
        .value_kind:     global_buffer
      - .actual_access:  read_only
        .address_space:  global
        .offset:         88
        .size:           8
        .value_kind:     global_buffer
      - .address_space:  global
        .offset:         96
        .size:           8
        .value_kind:     global_buffer
      - .address_space:  global
        .offset:         104
        .size:           8
        .value_kind:     global_buffer
      - .address_space:  global
        .offset:         112
        .size:           8
        .value_kind:     global_buffer
    .group_segment_fixed_size: 0
    .kernarg_segment_align: 8
    .kernarg_segment_size: 120
    .language:       OpenCL C
    .language_version:
      - 2
      - 0
    .max_flat_workgroup_size: 1024
    .name:           _ZN9rocsparseL20kernel_calculate_cooILi1024ELi64ELb0E21rocsparse_complex_numIfEiiEEvT4_T3_PKS3_S6_PKT2_21rocsparse_index_base_PKS4_SC_S6_SC_SC_S6_SC_PS7_PNS_15floating_traitsIS7_E6data_tEPKSG_
    .private_segment_fixed_size: 0
    .sgpr_count:     42
    .sgpr_spill_count: 0
    .symbol:         _ZN9rocsparseL20kernel_calculate_cooILi1024ELi64ELb0E21rocsparse_complex_numIfEiiEEvT4_T3_PKS3_S6_PKT2_21rocsparse_index_base_PKS4_SC_S6_SC_SC_S6_SC_PS7_PNS_15floating_traitsIS7_E6data_tEPKSG_.kd
    .uniform_work_group_size: 1
    .uses_dynamic_stack: false
    .vgpr_count:     26
    .vgpr_spill_count: 0
    .wavefront_size: 64
  - .agpr_count:     0
    .args:
      - .offset:         0
        .size:           4
        .value_kind:     by_value
      - .offset:         4
        .size:           4
        .value_kind:     by_value
      - .actual_access:  read_only
        .address_space:  global
        .offset:         8
        .size:           8
        .value_kind:     global_buffer
      - .actual_access:  read_only
        .address_space:  global
        .offset:         16
        .size:           8
        .value_kind:     global_buffer
      - .actual_access:  read_only
        .address_space:  global
        .offset:         24
        .size:           8
        .value_kind:     global_buffer
      - .offset:         32
        .size:           4
        .value_kind:     by_value
      - .actual_access:  read_only
        .address_space:  global
        .offset:         40
        .size:           8
        .value_kind:     global_buffer
      - .actual_access:  read_only
        .address_space:  global
        .offset:         48
        .size:           8
        .value_kind:     global_buffer
      - .actual_access:  read_only
        .address_space:  global
        .offset:         56
        .size:           8
        .value_kind:     global_buffer
      - .actual_access:  read_only
        .address_space:  global
        .offset:         64
        .size:           8
        .value_kind:     global_buffer
      - .actual_access:  read_only
        .address_space:  global
        .offset:         72
        .size:           8
        .value_kind:     global_buffer
      - .actual_access:  read_only
        .address_space:  global
        .offset:         80
        .size:           8
        .value_kind:     global_buffer
      - .actual_access:  read_only
        .address_space:  global
        .offset:         88
        .size:           8
        .value_kind:     global_buffer
      - .address_space:  global
        .offset:         96
        .size:           8
        .value_kind:     global_buffer
      - .address_space:  global
        .offset:         104
        .size:           8
        .value_kind:     global_buffer
      - .address_space:  global
        .offset:         112
        .size:           8
        .value_kind:     global_buffer
    .group_segment_fixed_size: 256
    .kernarg_segment_align: 8
    .kernarg_segment_size: 120
    .language:       OpenCL C
    .language_version:
      - 2
      - 0
    .max_flat_workgroup_size: 1024
    .name:           _ZN9rocsparseL20kernel_calculate_cooILi1024ELi32ELb1E21rocsparse_complex_numIdEiiEEvT4_T3_PKS3_S6_PKT2_21rocsparse_index_base_PKS4_SC_S6_SC_SC_S6_SC_PS7_PNS_15floating_traitsIS7_E6data_tEPKSG_
    .private_segment_fixed_size: 0
    .sgpr_count:     60
    .sgpr_spill_count: 0
    .symbol:         _ZN9rocsparseL20kernel_calculate_cooILi1024ELi32ELb1E21rocsparse_complex_numIdEiiEEvT4_T3_PKS3_S6_PKT2_21rocsparse_index_base_PKS4_SC_S6_SC_SC_S6_SC_PS7_PNS_15floating_traitsIS7_E6data_tEPKSG_.kd
    .uniform_work_group_size: 1
    .uses_dynamic_stack: false
    .vgpr_count:     42
    .vgpr_spill_count: 0
    .wavefront_size: 64
  - .agpr_count:     0
    .args:
      - .offset:         0
        .size:           4
        .value_kind:     by_value
      - .offset:         4
        .size:           4
        .value_kind:     by_value
      - .actual_access:  read_only
        .address_space:  global
        .offset:         8
        .size:           8
        .value_kind:     global_buffer
      - .actual_access:  read_only
        .address_space:  global
        .offset:         16
        .size:           8
        .value_kind:     global_buffer
      - .actual_access:  read_only
        .address_space:  global
        .offset:         24
        .size:           8
        .value_kind:     global_buffer
      - .offset:         32
        .size:           4
        .value_kind:     by_value
      - .actual_access:  read_only
        .address_space:  global
        .offset:         40
        .size:           8
        .value_kind:     global_buffer
      - .actual_access:  read_only
        .address_space:  global
        .offset:         48
        .size:           8
        .value_kind:     global_buffer
      - .actual_access:  read_only
        .address_space:  global
        .offset:         56
        .size:           8
        .value_kind:     global_buffer
      - .actual_access:  read_only
        .address_space:  global
        .offset:         64
        .size:           8
        .value_kind:     global_buffer
      - .actual_access:  read_only
        .address_space:  global
        .offset:         72
        .size:           8
        .value_kind:     global_buffer
      - .actual_access:  read_only
        .address_space:  global
        .offset:         80
        .size:           8
        .value_kind:     global_buffer
      - .actual_access:  read_only
        .address_space:  global
        .offset:         88
        .size:           8
        .value_kind:     global_buffer
      - .address_space:  global
        .offset:         96
        .size:           8
        .value_kind:     global_buffer
      - .address_space:  global
        .offset:         104
        .size:           8
        .value_kind:     global_buffer
      - .address_space:  global
        .offset:         112
        .size:           8
        .value_kind:     global_buffer
    .group_segment_fixed_size: 128
    .kernarg_segment_align: 8
    .kernarg_segment_size: 120
    .language:       OpenCL C
    .language_version:
      - 2
      - 0
    .max_flat_workgroup_size: 1024
    .name:           _ZN9rocsparseL20kernel_calculate_cooILi1024ELi64ELb1E21rocsparse_complex_numIdEiiEEvT4_T3_PKS3_S6_PKT2_21rocsparse_index_base_PKS4_SC_S6_SC_SC_S6_SC_PS7_PNS_15floating_traitsIS7_E6data_tEPKSG_
    .private_segment_fixed_size: 0
    .sgpr_count:     60
    .sgpr_spill_count: 0
    .symbol:         _ZN9rocsparseL20kernel_calculate_cooILi1024ELi64ELb1E21rocsparse_complex_numIdEiiEEvT4_T3_PKS3_S6_PKT2_21rocsparse_index_base_PKS4_SC_S6_SC_SC_S6_SC_PS7_PNS_15floating_traitsIS7_E6data_tEPKSG_.kd
    .uniform_work_group_size: 1
    .uses_dynamic_stack: false
    .vgpr_count:     42
    .vgpr_spill_count: 0
    .wavefront_size: 64
  - .agpr_count:     0
    .args:
      - .offset:         0
        .size:           4
        .value_kind:     by_value
      - .offset:         4
        .size:           4
        .value_kind:     by_value
      - .actual_access:  read_only
        .address_space:  global
        .offset:         8
        .size:           8
        .value_kind:     global_buffer
      - .actual_access:  read_only
        .address_space:  global
        .offset:         16
        .size:           8
        .value_kind:     global_buffer
      - .actual_access:  read_only
        .address_space:  global
        .offset:         24
        .size:           8
        .value_kind:     global_buffer
      - .actual_access:  read_only
        .address_space:  global
        .offset:         32
        .size:           8
        .value_kind:     global_buffer
      - .offset:         40
        .size:           4
        .value_kind:     by_value
      - .actual_access:  read_only
        .address_space:  global
        .offset:         48
        .size:           8
        .value_kind:     global_buffer
      - .actual_access:  read_only
        .address_space:  global
        .offset:         56
        .size:           8
        .value_kind:     global_buffer
      - .actual_access:  read_only
        .address_space:  global
        .offset:         64
        .size:           8
        .value_kind:     global_buffer
      - .actual_access:  read_only
        .address_space:  global
        .offset:         72
        .size:           8
        .value_kind:     global_buffer
      - .actual_access:  read_only
        .address_space:  global
        .offset:         80
        .size:           8
        .value_kind:     global_buffer
      - .actual_access:  read_only
        .address_space:  global
        .offset:         88
        .size:           8
        .value_kind:     global_buffer
      - .actual_access:  read_only
        .address_space:  global
        .offset:         96
        .size:           8
        .value_kind:     global_buffer
      - .address_space:  global
        .offset:         104
        .size:           8
        .value_kind:     global_buffer
      - .address_space:  global
        .offset:         112
        .size:           8
        .value_kind:     global_buffer
      - .address_space:  global
        .offset:         120
        .size:           8
        .value_kind:     global_buffer
    .group_segment_fixed_size: 8192
    .kernarg_segment_align: 8
    .kernarg_segment_size: 128
    .language:       OpenCL C
    .language_version:
      - 2
      - 0
    .max_flat_workgroup_size: 1024
    .name:           _ZN9rocsparseL16kernel_calculateILi1024ELi1ELb1E21rocsparse_complex_numIdEiiEEvT4_T3_PKS4_S6_PKS3_PKT2_21rocsparse_index_base_S6_S6_S8_S6_S6_S8_S6_PS9_PNS_15floating_traitsIS9_E6data_tEPKSG_
    .private_segment_fixed_size: 0
    .sgpr_count:     58
    .sgpr_spill_count: 0
    .symbol:         _ZN9rocsparseL16kernel_calculateILi1024ELi1ELb1E21rocsparse_complex_numIdEiiEEvT4_T3_PKS4_S6_PKS3_PKT2_21rocsparse_index_base_S6_S6_S8_S6_S6_S8_S6_PS9_PNS_15floating_traitsIS9_E6data_tEPKSG_.kd
    .uniform_work_group_size: 1
    .uses_dynamic_stack: false
    .vgpr_count:     46
    .vgpr_spill_count: 0
    .wavefront_size: 64
  - .agpr_count:     0
    .args:
      - .offset:         0
        .size:           4
        .value_kind:     by_value
      - .offset:         4
        .size:           4
        .value_kind:     by_value
      - .actual_access:  read_only
        .address_space:  global
        .offset:         8
        .size:           8
        .value_kind:     global_buffer
      - .actual_access:  read_only
        .address_space:  global
        .offset:         16
        .size:           8
        .value_kind:     global_buffer
      - .actual_access:  read_only
        .address_space:  global
        .offset:         24
        .size:           8
        .value_kind:     global_buffer
      - .actual_access:  read_only
        .address_space:  global
        .offset:         32
        .size:           8
        .value_kind:     global_buffer
      - .offset:         40
        .size:           4
        .value_kind:     by_value
      - .actual_access:  read_only
        .address_space:  global
        .offset:         48
        .size:           8
        .value_kind:     global_buffer
      - .actual_access:  read_only
        .address_space:  global
        .offset:         56
        .size:           8
        .value_kind:     global_buffer
      - .actual_access:  read_only
        .address_space:  global
        .offset:         64
        .size:           8
        .value_kind:     global_buffer
      - .actual_access:  read_only
        .address_space:  global
        .offset:         72
        .size:           8
        .value_kind:     global_buffer
      - .actual_access:  read_only
        .address_space:  global
        .offset:         80
        .size:           8
        .value_kind:     global_buffer
      - .actual_access:  read_only
        .address_space:  global
        .offset:         88
        .size:           8
        .value_kind:     global_buffer
      - .actual_access:  read_only
        .address_space:  global
        .offset:         96
        .size:           8
        .value_kind:     global_buffer
      - .address_space:  global
        .offset:         104
        .size:           8
        .value_kind:     global_buffer
      - .address_space:  global
        .offset:         112
        .size:           8
        .value_kind:     global_buffer
      - .address_space:  global
        .offset:         120
        .size:           8
        .value_kind:     global_buffer
    .group_segment_fixed_size: 4096
    .kernarg_segment_align: 8
    .kernarg_segment_size: 128
    .language:       OpenCL C
    .language_version:
      - 2
      - 0
    .max_flat_workgroup_size: 1024
    .name:           _ZN9rocsparseL16kernel_calculateILi1024ELi2ELb1E21rocsparse_complex_numIdEiiEEvT4_T3_PKS4_S6_PKS3_PKT2_21rocsparse_index_base_S6_S6_S8_S6_S6_S8_S6_PS9_PNS_15floating_traitsIS9_E6data_tEPKSG_
    .private_segment_fixed_size: 0
    .sgpr_count:     68
    .sgpr_spill_count: 0
    .symbol:         _ZN9rocsparseL16kernel_calculateILi1024ELi2ELb1E21rocsparse_complex_numIdEiiEEvT4_T3_PKS4_S6_PKS3_PKT2_21rocsparse_index_base_S6_S6_S8_S6_S6_S8_S6_PS9_PNS_15floating_traitsIS9_E6data_tEPKSG_.kd
    .uniform_work_group_size: 1
    .uses_dynamic_stack: false
    .vgpr_count:     50
    .vgpr_spill_count: 0
    .wavefront_size: 64
  - .agpr_count:     0
    .args:
      - .offset:         0
        .size:           4
        .value_kind:     by_value
      - .offset:         4
        .size:           4
        .value_kind:     by_value
      - .actual_access:  read_only
        .address_space:  global
        .offset:         8
        .size:           8
        .value_kind:     global_buffer
      - .actual_access:  read_only
        .address_space:  global
        .offset:         16
        .size:           8
        .value_kind:     global_buffer
      - .actual_access:  read_only
        .address_space:  global
        .offset:         24
        .size:           8
        .value_kind:     global_buffer
      - .actual_access:  read_only
        .address_space:  global
        .offset:         32
        .size:           8
        .value_kind:     global_buffer
      - .offset:         40
        .size:           4
        .value_kind:     by_value
      - .actual_access:  read_only
        .address_space:  global
        .offset:         48
        .size:           8
        .value_kind:     global_buffer
      - .actual_access:  read_only
        .address_space:  global
        .offset:         56
        .size:           8
        .value_kind:     global_buffer
      - .actual_access:  read_only
        .address_space:  global
        .offset:         64
        .size:           8
        .value_kind:     global_buffer
      - .actual_access:  read_only
        .address_space:  global
        .offset:         72
        .size:           8
        .value_kind:     global_buffer
      - .actual_access:  read_only
        .address_space:  global
        .offset:         80
        .size:           8
        .value_kind:     global_buffer
      - .actual_access:  read_only
        .address_space:  global
        .offset:         88
        .size:           8
        .value_kind:     global_buffer
      - .actual_access:  read_only
        .address_space:  global
        .offset:         96
        .size:           8
        .value_kind:     global_buffer
      - .address_space:  global
        .offset:         104
        .size:           8
        .value_kind:     global_buffer
      - .address_space:  global
        .offset:         112
        .size:           8
        .value_kind:     global_buffer
      - .address_space:  global
        .offset:         120
        .size:           8
        .value_kind:     global_buffer
    .group_segment_fixed_size: 2048
    .kernarg_segment_align: 8
    .kernarg_segment_size: 128
    .language:       OpenCL C
    .language_version:
      - 2
      - 0
    .max_flat_workgroup_size: 1024
    .name:           _ZN9rocsparseL16kernel_calculateILi1024ELi4ELb1E21rocsparse_complex_numIdEiiEEvT4_T3_PKS4_S6_PKS3_PKT2_21rocsparse_index_base_S6_S6_S8_S6_S6_S8_S6_PS9_PNS_15floating_traitsIS9_E6data_tEPKSG_
    .private_segment_fixed_size: 0
    .sgpr_count:     68
    .sgpr_spill_count: 0
    .symbol:         _ZN9rocsparseL16kernel_calculateILi1024ELi4ELb1E21rocsparse_complex_numIdEiiEEvT4_T3_PKS4_S6_PKS3_PKT2_21rocsparse_index_base_S6_S6_S8_S6_S6_S8_S6_PS9_PNS_15floating_traitsIS9_E6data_tEPKSG_.kd
    .uniform_work_group_size: 1
    .uses_dynamic_stack: false
    .vgpr_count:     50
    .vgpr_spill_count: 0
    .wavefront_size: 64
  - .agpr_count:     0
    .args:
      - .offset:         0
        .size:           4
        .value_kind:     by_value
      - .offset:         4
        .size:           4
        .value_kind:     by_value
      - .actual_access:  read_only
        .address_space:  global
        .offset:         8
        .size:           8
        .value_kind:     global_buffer
      - .actual_access:  read_only
        .address_space:  global
        .offset:         16
        .size:           8
        .value_kind:     global_buffer
      - .actual_access:  read_only
        .address_space:  global
        .offset:         24
        .size:           8
        .value_kind:     global_buffer
      - .actual_access:  read_only
        .address_space:  global
        .offset:         32
        .size:           8
        .value_kind:     global_buffer
      - .offset:         40
        .size:           4
        .value_kind:     by_value
      - .actual_access:  read_only
        .address_space:  global
        .offset:         48
        .size:           8
        .value_kind:     global_buffer
      - .actual_access:  read_only
        .address_space:  global
        .offset:         56
        .size:           8
        .value_kind:     global_buffer
      - .actual_access:  read_only
        .address_space:  global
        .offset:         64
        .size:           8
        .value_kind:     global_buffer
      - .actual_access:  read_only
        .address_space:  global
        .offset:         72
        .size:           8
        .value_kind:     global_buffer
      - .actual_access:  read_only
        .address_space:  global
        .offset:         80
        .size:           8
        .value_kind:     global_buffer
      - .actual_access:  read_only
        .address_space:  global
        .offset:         88
        .size:           8
        .value_kind:     global_buffer
      - .actual_access:  read_only
        .address_space:  global
        .offset:         96
        .size:           8
        .value_kind:     global_buffer
      - .address_space:  global
        .offset:         104
        .size:           8
        .value_kind:     global_buffer
      - .address_space:  global
        .offset:         112
        .size:           8
        .value_kind:     global_buffer
      - .address_space:  global
        .offset:         120
        .size:           8
        .value_kind:     global_buffer
    .group_segment_fixed_size: 1024
    .kernarg_segment_align: 8
    .kernarg_segment_size: 128
    .language:       OpenCL C
    .language_version:
      - 2
      - 0
    .max_flat_workgroup_size: 1024
    .name:           _ZN9rocsparseL16kernel_calculateILi1024ELi8ELb1E21rocsparse_complex_numIdEiiEEvT4_T3_PKS4_S6_PKS3_PKT2_21rocsparse_index_base_S6_S6_S8_S6_S6_S8_S6_PS9_PNS_15floating_traitsIS9_E6data_tEPKSG_
    .private_segment_fixed_size: 0
    .sgpr_count:     68
    .sgpr_spill_count: 0
    .symbol:         _ZN9rocsparseL16kernel_calculateILi1024ELi8ELb1E21rocsparse_complex_numIdEiiEEvT4_T3_PKS4_S6_PKS3_PKT2_21rocsparse_index_base_S6_S6_S8_S6_S6_S8_S6_PS9_PNS_15floating_traitsIS9_E6data_tEPKSG_.kd
    .uniform_work_group_size: 1
    .uses_dynamic_stack: false
    .vgpr_count:     50
    .vgpr_spill_count: 0
    .wavefront_size: 64
  - .agpr_count:     0
    .args:
      - .offset:         0
        .size:           4
        .value_kind:     by_value
      - .offset:         4
        .size:           4
        .value_kind:     by_value
      - .actual_access:  read_only
        .address_space:  global
        .offset:         8
        .size:           8
        .value_kind:     global_buffer
      - .actual_access:  read_only
        .address_space:  global
        .offset:         16
        .size:           8
        .value_kind:     global_buffer
      - .actual_access:  read_only
        .address_space:  global
        .offset:         24
        .size:           8
        .value_kind:     global_buffer
      - .actual_access:  read_only
        .address_space:  global
        .offset:         32
        .size:           8
        .value_kind:     global_buffer
      - .offset:         40
        .size:           4
        .value_kind:     by_value
      - .actual_access:  read_only
        .address_space:  global
        .offset:         48
        .size:           8
        .value_kind:     global_buffer
      - .actual_access:  read_only
        .address_space:  global
        .offset:         56
        .size:           8
        .value_kind:     global_buffer
      - .actual_access:  read_only
        .address_space:  global
        .offset:         64
        .size:           8
        .value_kind:     global_buffer
      - .actual_access:  read_only
        .address_space:  global
        .offset:         72
        .size:           8
        .value_kind:     global_buffer
      - .actual_access:  read_only
        .address_space:  global
        .offset:         80
        .size:           8
        .value_kind:     global_buffer
      - .actual_access:  read_only
        .address_space:  global
        .offset:         88
        .size:           8
        .value_kind:     global_buffer
      - .actual_access:  read_only
        .address_space:  global
        .offset:         96
        .size:           8
        .value_kind:     global_buffer
      - .address_space:  global
        .offset:         104
        .size:           8
        .value_kind:     global_buffer
      - .address_space:  global
        .offset:         112
        .size:           8
        .value_kind:     global_buffer
      - .address_space:  global
        .offset:         120
        .size:           8
        .value_kind:     global_buffer
    .group_segment_fixed_size: 512
    .kernarg_segment_align: 8
    .kernarg_segment_size: 128
    .language:       OpenCL C
    .language_version:
      - 2
      - 0
    .max_flat_workgroup_size: 1024
    .name:           _ZN9rocsparseL16kernel_calculateILi1024ELi16ELb1E21rocsparse_complex_numIdEiiEEvT4_T3_PKS4_S6_PKS3_PKT2_21rocsparse_index_base_S6_S6_S8_S6_S6_S8_S6_PS9_PNS_15floating_traitsIS9_E6data_tEPKSG_
    .private_segment_fixed_size: 0
    .sgpr_count:     68
    .sgpr_spill_count: 0
    .symbol:         _ZN9rocsparseL16kernel_calculateILi1024ELi16ELb1E21rocsparse_complex_numIdEiiEEvT4_T3_PKS4_S6_PKS3_PKT2_21rocsparse_index_base_S6_S6_S8_S6_S6_S8_S6_PS9_PNS_15floating_traitsIS9_E6data_tEPKSG_.kd
    .uniform_work_group_size: 1
    .uses_dynamic_stack: false
    .vgpr_count:     50
    .vgpr_spill_count: 0
    .wavefront_size: 64
  - .agpr_count:     0
    .args:
      - .offset:         0
        .size:           4
        .value_kind:     by_value
      - .offset:         4
        .size:           4
        .value_kind:     by_value
      - .actual_access:  read_only
        .address_space:  global
        .offset:         8
        .size:           8
        .value_kind:     global_buffer
      - .actual_access:  read_only
        .address_space:  global
        .offset:         16
        .size:           8
        .value_kind:     global_buffer
      - .actual_access:  read_only
        .address_space:  global
        .offset:         24
        .size:           8
        .value_kind:     global_buffer
      - .actual_access:  read_only
        .address_space:  global
        .offset:         32
        .size:           8
        .value_kind:     global_buffer
      - .offset:         40
        .size:           4
        .value_kind:     by_value
      - .actual_access:  read_only
        .address_space:  global
        .offset:         48
        .size:           8
        .value_kind:     global_buffer
      - .actual_access:  read_only
        .address_space:  global
        .offset:         56
        .size:           8
        .value_kind:     global_buffer
      - .actual_access:  read_only
        .address_space:  global
        .offset:         64
        .size:           8
        .value_kind:     global_buffer
      - .actual_access:  read_only
        .address_space:  global
        .offset:         72
        .size:           8
        .value_kind:     global_buffer
      - .actual_access:  read_only
        .address_space:  global
        .offset:         80
        .size:           8
        .value_kind:     global_buffer
      - .actual_access:  read_only
        .address_space:  global
        .offset:         88
        .size:           8
        .value_kind:     global_buffer
      - .actual_access:  read_only
        .address_space:  global
        .offset:         96
        .size:           8
        .value_kind:     global_buffer
      - .address_space:  global
        .offset:         104
        .size:           8
        .value_kind:     global_buffer
      - .address_space:  global
        .offset:         112
        .size:           8
        .value_kind:     global_buffer
      - .address_space:  global
        .offset:         120
        .size:           8
        .value_kind:     global_buffer
    .group_segment_fixed_size: 256
    .kernarg_segment_align: 8
    .kernarg_segment_size: 128
    .language:       OpenCL C
    .language_version:
      - 2
      - 0
    .max_flat_workgroup_size: 1024
    .name:           _ZN9rocsparseL16kernel_calculateILi1024ELi32ELb1E21rocsparse_complex_numIdEiiEEvT4_T3_PKS4_S6_PKS3_PKT2_21rocsparse_index_base_S6_S6_S8_S6_S6_S8_S6_PS9_PNS_15floating_traitsIS9_E6data_tEPKSG_
    .private_segment_fixed_size: 0
    .sgpr_count:     68
    .sgpr_spill_count: 0
    .symbol:         _ZN9rocsparseL16kernel_calculateILi1024ELi32ELb1E21rocsparse_complex_numIdEiiEEvT4_T3_PKS4_S6_PKS3_PKT2_21rocsparse_index_base_S6_S6_S8_S6_S6_S8_S6_PS9_PNS_15floating_traitsIS9_E6data_tEPKSG_.kd
    .uniform_work_group_size: 1
    .uses_dynamic_stack: false
    .vgpr_count:     50
    .vgpr_spill_count: 0
    .wavefront_size: 64
  - .agpr_count:     0
    .args:
      - .offset:         0
        .size:           4
        .value_kind:     by_value
      - .offset:         4
        .size:           4
        .value_kind:     by_value
      - .actual_access:  read_only
        .address_space:  global
        .offset:         8
        .size:           8
        .value_kind:     global_buffer
      - .actual_access:  read_only
        .address_space:  global
        .offset:         16
        .size:           8
        .value_kind:     global_buffer
      - .actual_access:  read_only
        .address_space:  global
        .offset:         24
        .size:           8
        .value_kind:     global_buffer
      - .actual_access:  read_only
        .address_space:  global
        .offset:         32
        .size:           8
        .value_kind:     global_buffer
      - .offset:         40
        .size:           4
        .value_kind:     by_value
      - .actual_access:  read_only
        .address_space:  global
        .offset:         48
        .size:           8
        .value_kind:     global_buffer
      - .actual_access:  read_only
        .address_space:  global
        .offset:         56
        .size:           8
        .value_kind:     global_buffer
      - .actual_access:  read_only
        .address_space:  global
        .offset:         64
        .size:           8
        .value_kind:     global_buffer
      - .actual_access:  read_only
        .address_space:  global
        .offset:         72
        .size:           8
        .value_kind:     global_buffer
      - .actual_access:  read_only
        .address_space:  global
        .offset:         80
        .size:           8
        .value_kind:     global_buffer
      - .actual_access:  read_only
        .address_space:  global
        .offset:         88
        .size:           8
        .value_kind:     global_buffer
      - .actual_access:  read_only
        .address_space:  global
        .offset:         96
        .size:           8
        .value_kind:     global_buffer
      - .address_space:  global
        .offset:         104
        .size:           8
        .value_kind:     global_buffer
      - .address_space:  global
        .offset:         112
        .size:           8
        .value_kind:     global_buffer
      - .address_space:  global
        .offset:         120
        .size:           8
        .value_kind:     global_buffer
    .group_segment_fixed_size: 128
    .kernarg_segment_align: 8
    .kernarg_segment_size: 128
    .language:       OpenCL C
    .language_version:
      - 2
      - 0
    .max_flat_workgroup_size: 1024
    .name:           _ZN9rocsparseL16kernel_calculateILi1024ELi64ELb1E21rocsparse_complex_numIdEiiEEvT4_T3_PKS4_S6_PKS3_PKT2_21rocsparse_index_base_S6_S6_S8_S6_S6_S8_S6_PS9_PNS_15floating_traitsIS9_E6data_tEPKSG_
    .private_segment_fixed_size: 0
    .sgpr_count:     68
    .sgpr_spill_count: 0
    .symbol:         _ZN9rocsparseL16kernel_calculateILi1024ELi64ELb1E21rocsparse_complex_numIdEiiEEvT4_T3_PKS4_S6_PKS3_PKT2_21rocsparse_index_base_S6_S6_S8_S6_S6_S8_S6_PS9_PNS_15floating_traitsIS9_E6data_tEPKSG_.kd
    .uniform_work_group_size: 1
    .uses_dynamic_stack: false
    .vgpr_count:     50
    .vgpr_spill_count: 0
    .wavefront_size: 64
  - .agpr_count:     0
    .args:
      - .offset:         0
        .size:           4
        .value_kind:     by_value
      - .offset:         4
        .size:           4
        .value_kind:     by_value
      - .actual_access:  read_only
        .address_space:  global
        .offset:         8
        .size:           8
        .value_kind:     global_buffer
      - .actual_access:  read_only
        .address_space:  global
        .offset:         16
        .size:           8
        .value_kind:     global_buffer
      - .actual_access:  read_only
        .address_space:  global
        .offset:         24
        .size:           8
        .value_kind:     global_buffer
      - .actual_access:  read_only
        .address_space:  global
        .offset:         32
        .size:           8
        .value_kind:     global_buffer
      - .offset:         40
        .size:           4
        .value_kind:     by_value
      - .actual_access:  read_only
        .address_space:  global
        .offset:         48
        .size:           8
        .value_kind:     global_buffer
      - .actual_access:  read_only
        .address_space:  global
        .offset:         56
        .size:           8
        .value_kind:     global_buffer
      - .actual_access:  read_only
        .address_space:  global
        .offset:         64
        .size:           8
        .value_kind:     global_buffer
      - .actual_access:  read_only
        .address_space:  global
        .offset:         72
        .size:           8
        .value_kind:     global_buffer
      - .actual_access:  read_only
        .address_space:  global
        .offset:         80
        .size:           8
        .value_kind:     global_buffer
      - .actual_access:  read_only
        .address_space:  global
        .offset:         88
        .size:           8
        .value_kind:     global_buffer
      - .actual_access:  read_only
        .address_space:  global
        .offset:         96
        .size:           8
        .value_kind:     global_buffer
      - .address_space:  global
        .offset:         104
        .size:           8
        .value_kind:     global_buffer
      - .address_space:  global
        .offset:         112
        .size:           8
        .value_kind:     global_buffer
      - .address_space:  global
        .offset:         120
        .size:           8
        .value_kind:     global_buffer
    .group_segment_fixed_size: 0
    .kernarg_segment_align: 8
    .kernarg_segment_size: 128
    .language:       OpenCL C
    .language_version:
      - 2
      - 0
    .max_flat_workgroup_size: 1024
    .name:           _ZN9rocsparseL16kernel_calculateILi1024ELi1ELb0E21rocsparse_complex_numIdEiiEEvT4_T3_PKS4_S6_PKS3_PKT2_21rocsparse_index_base_S6_S6_S8_S6_S6_S8_S6_PS9_PNS_15floating_traitsIS9_E6data_tEPKSG_
    .private_segment_fixed_size: 0
    .sgpr_count:     38
    .sgpr_spill_count: 0
    .symbol:         _ZN9rocsparseL16kernel_calculateILi1024ELi1ELb0E21rocsparse_complex_numIdEiiEEvT4_T3_PKS4_S6_PKS3_PKT2_21rocsparse_index_base_S6_S6_S8_S6_S6_S8_S6_PS9_PNS_15floating_traitsIS9_E6data_tEPKSG_.kd
    .uniform_work_group_size: 1
    .uses_dynamic_stack: false
    .vgpr_count:     38
    .vgpr_spill_count: 0
    .wavefront_size: 64
  - .agpr_count:     0
    .args:
      - .offset:         0
        .size:           4
        .value_kind:     by_value
      - .offset:         4
        .size:           4
        .value_kind:     by_value
      - .actual_access:  read_only
        .address_space:  global
        .offset:         8
        .size:           8
        .value_kind:     global_buffer
      - .actual_access:  read_only
        .address_space:  global
        .offset:         16
        .size:           8
        .value_kind:     global_buffer
      - .actual_access:  read_only
        .address_space:  global
        .offset:         24
        .size:           8
        .value_kind:     global_buffer
      - .actual_access:  read_only
        .address_space:  global
        .offset:         32
        .size:           8
        .value_kind:     global_buffer
      - .offset:         40
        .size:           4
        .value_kind:     by_value
      - .actual_access:  read_only
        .address_space:  global
        .offset:         48
        .size:           8
        .value_kind:     global_buffer
      - .actual_access:  read_only
        .address_space:  global
        .offset:         56
        .size:           8
        .value_kind:     global_buffer
      - .actual_access:  read_only
        .address_space:  global
        .offset:         64
        .size:           8
        .value_kind:     global_buffer
      - .actual_access:  read_only
        .address_space:  global
        .offset:         72
        .size:           8
        .value_kind:     global_buffer
      - .actual_access:  read_only
        .address_space:  global
        .offset:         80
        .size:           8
        .value_kind:     global_buffer
      - .actual_access:  read_only
        .address_space:  global
        .offset:         88
        .size:           8
        .value_kind:     global_buffer
      - .actual_access:  read_only
        .address_space:  global
        .offset:         96
        .size:           8
        .value_kind:     global_buffer
      - .address_space:  global
        .offset:         104
        .size:           8
        .value_kind:     global_buffer
      - .address_space:  global
        .offset:         112
        .size:           8
        .value_kind:     global_buffer
      - .address_space:  global
        .offset:         120
        .size:           8
        .value_kind:     global_buffer
    .group_segment_fixed_size: 0
    .kernarg_segment_align: 8
    .kernarg_segment_size: 128
    .language:       OpenCL C
    .language_version:
      - 2
      - 0
    .max_flat_workgroup_size: 1024
    .name:           _ZN9rocsparseL16kernel_calculateILi1024ELi2ELb0E21rocsparse_complex_numIdEiiEEvT4_T3_PKS4_S6_PKS3_PKT2_21rocsparse_index_base_S6_S6_S8_S6_S6_S8_S6_PS9_PNS_15floating_traitsIS9_E6data_tEPKSG_
    .private_segment_fixed_size: 0
    .sgpr_count:     44
    .sgpr_spill_count: 0
    .symbol:         _ZN9rocsparseL16kernel_calculateILi1024ELi2ELb0E21rocsparse_complex_numIdEiiEEvT4_T3_PKS4_S6_PKS3_PKT2_21rocsparse_index_base_S6_S6_S8_S6_S6_S8_S6_PS9_PNS_15floating_traitsIS9_E6data_tEPKSG_.kd
    .uniform_work_group_size: 1
    .uses_dynamic_stack: false
    .vgpr_count:     44
    .vgpr_spill_count: 0
    .wavefront_size: 64
  - .agpr_count:     0
    .args:
      - .offset:         0
        .size:           4
        .value_kind:     by_value
      - .offset:         4
        .size:           4
        .value_kind:     by_value
      - .actual_access:  read_only
        .address_space:  global
        .offset:         8
        .size:           8
        .value_kind:     global_buffer
      - .actual_access:  read_only
        .address_space:  global
        .offset:         16
        .size:           8
        .value_kind:     global_buffer
      - .actual_access:  read_only
        .address_space:  global
        .offset:         24
        .size:           8
        .value_kind:     global_buffer
      - .actual_access:  read_only
        .address_space:  global
        .offset:         32
        .size:           8
        .value_kind:     global_buffer
      - .offset:         40
        .size:           4
        .value_kind:     by_value
      - .actual_access:  read_only
        .address_space:  global
        .offset:         48
        .size:           8
        .value_kind:     global_buffer
      - .actual_access:  read_only
        .address_space:  global
        .offset:         56
        .size:           8
        .value_kind:     global_buffer
      - .actual_access:  read_only
        .address_space:  global
        .offset:         64
        .size:           8
        .value_kind:     global_buffer
      - .actual_access:  read_only
        .address_space:  global
        .offset:         72
        .size:           8
        .value_kind:     global_buffer
      - .actual_access:  read_only
        .address_space:  global
        .offset:         80
        .size:           8
        .value_kind:     global_buffer
      - .actual_access:  read_only
        .address_space:  global
        .offset:         88
        .size:           8
        .value_kind:     global_buffer
      - .actual_access:  read_only
        .address_space:  global
        .offset:         96
        .size:           8
        .value_kind:     global_buffer
      - .address_space:  global
        .offset:         104
        .size:           8
        .value_kind:     global_buffer
      - .address_space:  global
        .offset:         112
        .size:           8
        .value_kind:     global_buffer
      - .address_space:  global
        .offset:         120
        .size:           8
        .value_kind:     global_buffer
    .group_segment_fixed_size: 0
    .kernarg_segment_align: 8
    .kernarg_segment_size: 128
    .language:       OpenCL C
    .language_version:
      - 2
      - 0
    .max_flat_workgroup_size: 1024
    .name:           _ZN9rocsparseL16kernel_calculateILi1024ELi4ELb0E21rocsparse_complex_numIdEiiEEvT4_T3_PKS4_S6_PKS3_PKT2_21rocsparse_index_base_S6_S6_S8_S6_S6_S8_S6_PS9_PNS_15floating_traitsIS9_E6data_tEPKSG_
    .private_segment_fixed_size: 0
    .sgpr_count:     49
    .sgpr_spill_count: 0
    .symbol:         _ZN9rocsparseL16kernel_calculateILi1024ELi4ELb0E21rocsparse_complex_numIdEiiEEvT4_T3_PKS4_S6_PKS3_PKT2_21rocsparse_index_base_S6_S6_S8_S6_S6_S8_S6_PS9_PNS_15floating_traitsIS9_E6data_tEPKSG_.kd
    .uniform_work_group_size: 1
    .uses_dynamic_stack: false
    .vgpr_count:     40
    .vgpr_spill_count: 0
    .wavefront_size: 64
  - .agpr_count:     0
    .args:
      - .offset:         0
        .size:           4
        .value_kind:     by_value
      - .offset:         4
        .size:           4
        .value_kind:     by_value
      - .actual_access:  read_only
        .address_space:  global
        .offset:         8
        .size:           8
        .value_kind:     global_buffer
      - .actual_access:  read_only
        .address_space:  global
        .offset:         16
        .size:           8
        .value_kind:     global_buffer
      - .actual_access:  read_only
        .address_space:  global
        .offset:         24
        .size:           8
        .value_kind:     global_buffer
      - .actual_access:  read_only
        .address_space:  global
        .offset:         32
        .size:           8
        .value_kind:     global_buffer
      - .offset:         40
        .size:           4
        .value_kind:     by_value
      - .actual_access:  read_only
        .address_space:  global
        .offset:         48
        .size:           8
        .value_kind:     global_buffer
      - .actual_access:  read_only
        .address_space:  global
        .offset:         56
        .size:           8
        .value_kind:     global_buffer
      - .actual_access:  read_only
        .address_space:  global
        .offset:         64
        .size:           8
        .value_kind:     global_buffer
      - .actual_access:  read_only
        .address_space:  global
        .offset:         72
        .size:           8
        .value_kind:     global_buffer
      - .actual_access:  read_only
        .address_space:  global
        .offset:         80
        .size:           8
        .value_kind:     global_buffer
      - .actual_access:  read_only
        .address_space:  global
        .offset:         88
        .size:           8
        .value_kind:     global_buffer
      - .actual_access:  read_only
        .address_space:  global
        .offset:         96
        .size:           8
        .value_kind:     global_buffer
      - .address_space:  global
        .offset:         104
        .size:           8
        .value_kind:     global_buffer
      - .address_space:  global
        .offset:         112
        .size:           8
        .value_kind:     global_buffer
      - .address_space:  global
        .offset:         120
        .size:           8
        .value_kind:     global_buffer
    .group_segment_fixed_size: 0
    .kernarg_segment_align: 8
    .kernarg_segment_size: 128
    .language:       OpenCL C
    .language_version:
      - 2
      - 0
    .max_flat_workgroup_size: 1024
    .name:           _ZN9rocsparseL16kernel_calculateILi1024ELi8ELb0E21rocsparse_complex_numIdEiiEEvT4_T3_PKS4_S6_PKS3_PKT2_21rocsparse_index_base_S6_S6_S8_S6_S6_S8_S6_PS9_PNS_15floating_traitsIS9_E6data_tEPKSG_
    .private_segment_fixed_size: 0
    .sgpr_count:     49
    .sgpr_spill_count: 0
    .symbol:         _ZN9rocsparseL16kernel_calculateILi1024ELi8ELb0E21rocsparse_complex_numIdEiiEEvT4_T3_PKS4_S6_PKS3_PKT2_21rocsparse_index_base_S6_S6_S8_S6_S6_S8_S6_PS9_PNS_15floating_traitsIS9_E6data_tEPKSG_.kd
    .uniform_work_group_size: 1
    .uses_dynamic_stack: false
    .vgpr_count:     40
    .vgpr_spill_count: 0
    .wavefront_size: 64
  - .agpr_count:     0
    .args:
      - .offset:         0
        .size:           4
        .value_kind:     by_value
      - .offset:         4
        .size:           4
        .value_kind:     by_value
      - .actual_access:  read_only
        .address_space:  global
        .offset:         8
        .size:           8
        .value_kind:     global_buffer
      - .actual_access:  read_only
        .address_space:  global
        .offset:         16
        .size:           8
        .value_kind:     global_buffer
      - .actual_access:  read_only
        .address_space:  global
        .offset:         24
        .size:           8
        .value_kind:     global_buffer
      - .actual_access:  read_only
        .address_space:  global
        .offset:         32
        .size:           8
        .value_kind:     global_buffer
      - .offset:         40
        .size:           4
        .value_kind:     by_value
      - .actual_access:  read_only
        .address_space:  global
        .offset:         48
        .size:           8
        .value_kind:     global_buffer
      - .actual_access:  read_only
        .address_space:  global
        .offset:         56
        .size:           8
        .value_kind:     global_buffer
      - .actual_access:  read_only
        .address_space:  global
        .offset:         64
        .size:           8
        .value_kind:     global_buffer
      - .actual_access:  read_only
        .address_space:  global
        .offset:         72
        .size:           8
        .value_kind:     global_buffer
      - .actual_access:  read_only
        .address_space:  global
        .offset:         80
        .size:           8
        .value_kind:     global_buffer
      - .actual_access:  read_only
        .address_space:  global
        .offset:         88
        .size:           8
        .value_kind:     global_buffer
      - .actual_access:  read_only
        .address_space:  global
        .offset:         96
        .size:           8
        .value_kind:     global_buffer
      - .address_space:  global
        .offset:         104
        .size:           8
        .value_kind:     global_buffer
      - .address_space:  global
        .offset:         112
        .size:           8
        .value_kind:     global_buffer
      - .address_space:  global
        .offset:         120
        .size:           8
        .value_kind:     global_buffer
    .group_segment_fixed_size: 0
    .kernarg_segment_align: 8
    .kernarg_segment_size: 128
    .language:       OpenCL C
    .language_version:
      - 2
      - 0
    .max_flat_workgroup_size: 1024
    .name:           _ZN9rocsparseL16kernel_calculateILi1024ELi16ELb0E21rocsparse_complex_numIdEiiEEvT4_T3_PKS4_S6_PKS3_PKT2_21rocsparse_index_base_S6_S6_S8_S6_S6_S8_S6_PS9_PNS_15floating_traitsIS9_E6data_tEPKSG_
    .private_segment_fixed_size: 0
    .sgpr_count:     49
    .sgpr_spill_count: 0
    .symbol:         _ZN9rocsparseL16kernel_calculateILi1024ELi16ELb0E21rocsparse_complex_numIdEiiEEvT4_T3_PKS4_S6_PKS3_PKT2_21rocsparse_index_base_S6_S6_S8_S6_S6_S8_S6_PS9_PNS_15floating_traitsIS9_E6data_tEPKSG_.kd
    .uniform_work_group_size: 1
    .uses_dynamic_stack: false
    .vgpr_count:     40
    .vgpr_spill_count: 0
    .wavefront_size: 64
  - .agpr_count:     0
    .args:
      - .offset:         0
        .size:           4
        .value_kind:     by_value
      - .offset:         4
        .size:           4
        .value_kind:     by_value
      - .actual_access:  read_only
        .address_space:  global
        .offset:         8
        .size:           8
        .value_kind:     global_buffer
      - .actual_access:  read_only
        .address_space:  global
        .offset:         16
        .size:           8
        .value_kind:     global_buffer
      - .actual_access:  read_only
        .address_space:  global
        .offset:         24
        .size:           8
        .value_kind:     global_buffer
      - .actual_access:  read_only
        .address_space:  global
        .offset:         32
        .size:           8
        .value_kind:     global_buffer
      - .offset:         40
        .size:           4
        .value_kind:     by_value
      - .actual_access:  read_only
        .address_space:  global
        .offset:         48
        .size:           8
        .value_kind:     global_buffer
      - .actual_access:  read_only
        .address_space:  global
        .offset:         56
        .size:           8
        .value_kind:     global_buffer
      - .actual_access:  read_only
        .address_space:  global
        .offset:         64
        .size:           8
        .value_kind:     global_buffer
      - .actual_access:  read_only
        .address_space:  global
        .offset:         72
        .size:           8
        .value_kind:     global_buffer
      - .actual_access:  read_only
        .address_space:  global
        .offset:         80
        .size:           8
        .value_kind:     global_buffer
      - .actual_access:  read_only
        .address_space:  global
        .offset:         88
        .size:           8
        .value_kind:     global_buffer
      - .actual_access:  read_only
        .address_space:  global
        .offset:         96
        .size:           8
        .value_kind:     global_buffer
      - .address_space:  global
        .offset:         104
        .size:           8
        .value_kind:     global_buffer
      - .address_space:  global
        .offset:         112
        .size:           8
        .value_kind:     global_buffer
      - .address_space:  global
        .offset:         120
        .size:           8
        .value_kind:     global_buffer
    .group_segment_fixed_size: 0
    .kernarg_segment_align: 8
    .kernarg_segment_size: 128
    .language:       OpenCL C
    .language_version:
      - 2
      - 0
    .max_flat_workgroup_size: 1024
    .name:           _ZN9rocsparseL16kernel_calculateILi1024ELi32ELb0E21rocsparse_complex_numIdEiiEEvT4_T3_PKS4_S6_PKS3_PKT2_21rocsparse_index_base_S6_S6_S8_S6_S6_S8_S6_PS9_PNS_15floating_traitsIS9_E6data_tEPKSG_
    .private_segment_fixed_size: 0
    .sgpr_count:     49
    .sgpr_spill_count: 0
    .symbol:         _ZN9rocsparseL16kernel_calculateILi1024ELi32ELb0E21rocsparse_complex_numIdEiiEEvT4_T3_PKS4_S6_PKS3_PKT2_21rocsparse_index_base_S6_S6_S8_S6_S6_S8_S6_PS9_PNS_15floating_traitsIS9_E6data_tEPKSG_.kd
    .uniform_work_group_size: 1
    .uses_dynamic_stack: false
    .vgpr_count:     40
    .vgpr_spill_count: 0
    .wavefront_size: 64
  - .agpr_count:     0
    .args:
      - .offset:         0
        .size:           4
        .value_kind:     by_value
      - .offset:         4
        .size:           4
        .value_kind:     by_value
      - .actual_access:  read_only
        .address_space:  global
        .offset:         8
        .size:           8
        .value_kind:     global_buffer
      - .actual_access:  read_only
        .address_space:  global
        .offset:         16
        .size:           8
        .value_kind:     global_buffer
      - .actual_access:  read_only
        .address_space:  global
        .offset:         24
        .size:           8
        .value_kind:     global_buffer
      - .actual_access:  read_only
        .address_space:  global
        .offset:         32
        .size:           8
        .value_kind:     global_buffer
      - .offset:         40
        .size:           4
        .value_kind:     by_value
      - .actual_access:  read_only
        .address_space:  global
        .offset:         48
        .size:           8
        .value_kind:     global_buffer
      - .actual_access:  read_only
        .address_space:  global
        .offset:         56
        .size:           8
        .value_kind:     global_buffer
      - .actual_access:  read_only
        .address_space:  global
        .offset:         64
        .size:           8
        .value_kind:     global_buffer
      - .actual_access:  read_only
        .address_space:  global
        .offset:         72
        .size:           8
        .value_kind:     global_buffer
      - .actual_access:  read_only
        .address_space:  global
        .offset:         80
        .size:           8
        .value_kind:     global_buffer
      - .actual_access:  read_only
        .address_space:  global
        .offset:         88
        .size:           8
        .value_kind:     global_buffer
      - .actual_access:  read_only
        .address_space:  global
        .offset:         96
        .size:           8
        .value_kind:     global_buffer
      - .address_space:  global
        .offset:         104
        .size:           8
        .value_kind:     global_buffer
      - .address_space:  global
        .offset:         112
        .size:           8
        .value_kind:     global_buffer
      - .address_space:  global
        .offset:         120
        .size:           8
        .value_kind:     global_buffer
    .group_segment_fixed_size: 0
    .kernarg_segment_align: 8
    .kernarg_segment_size: 128
    .language:       OpenCL C
    .language_version:
      - 2
      - 0
    .max_flat_workgroup_size: 1024
    .name:           _ZN9rocsparseL16kernel_calculateILi1024ELi64ELb0E21rocsparse_complex_numIdEiiEEvT4_T3_PKS4_S6_PKS3_PKT2_21rocsparse_index_base_S6_S6_S8_S6_S6_S8_S6_PS9_PNS_15floating_traitsIS9_E6data_tEPKSG_
    .private_segment_fixed_size: 0
    .sgpr_count:     49
    .sgpr_spill_count: 0
    .symbol:         _ZN9rocsparseL16kernel_calculateILi1024ELi64ELb0E21rocsparse_complex_numIdEiiEEvT4_T3_PKS4_S6_PKS3_PKT2_21rocsparse_index_base_S6_S6_S8_S6_S6_S8_S6_PS9_PNS_15floating_traitsIS9_E6data_tEPKSG_.kd
    .uniform_work_group_size: 1
    .uses_dynamic_stack: false
    .vgpr_count:     40
    .vgpr_spill_count: 0
    .wavefront_size: 64
  - .agpr_count:     0
    .args:
      - .offset:         0
        .size:           4
        .value_kind:     by_value
      - .offset:         4
        .size:           4
        .value_kind:     by_value
      - .actual_access:  read_only
        .address_space:  global
        .offset:         8
        .size:           8
        .value_kind:     global_buffer
      - .actual_access:  read_only
        .address_space:  global
        .offset:         16
        .size:           8
        .value_kind:     global_buffer
      - .actual_access:  read_only
        .address_space:  global
        .offset:         24
        .size:           8
        .value_kind:     global_buffer
      - .offset:         32
        .size:           4
        .value_kind:     by_value
      - .actual_access:  read_only
        .address_space:  global
        .offset:         40
        .size:           8
        .value_kind:     global_buffer
      - .actual_access:  read_only
        .address_space:  global
        .offset:         48
        .size:           8
        .value_kind:     global_buffer
      - .actual_access:  read_only
        .address_space:  global
        .offset:         56
        .size:           8
        .value_kind:     global_buffer
      - .actual_access:  read_only
        .address_space:  global
        .offset:         64
        .size:           8
        .value_kind:     global_buffer
      - .actual_access:  read_only
        .address_space:  global
        .offset:         72
        .size:           8
        .value_kind:     global_buffer
      - .actual_access:  read_only
        .address_space:  global
        .offset:         80
        .size:           8
        .value_kind:     global_buffer
      - .actual_access:  read_only
        .address_space:  global
        .offset:         88
        .size:           8
        .value_kind:     global_buffer
      - .address_space:  global
        .offset:         96
        .size:           8
        .value_kind:     global_buffer
      - .address_space:  global
        .offset:         104
        .size:           8
        .value_kind:     global_buffer
      - .address_space:  global
        .offset:         112
        .size:           8
        .value_kind:     global_buffer
    .group_segment_fixed_size: 0
    .kernarg_segment_align: 8
    .kernarg_segment_size: 120
    .language:       OpenCL C
    .language_version:
      - 2
      - 0
    .max_flat_workgroup_size: 1024
    .name:           _ZN9rocsparseL20kernel_calculate_cooILi1024ELi32ELb0E21rocsparse_complex_numIdEiiEEvT4_T3_PKS3_S6_PKT2_21rocsparse_index_base_PKS4_SC_S6_SC_SC_S6_SC_PS7_PNS_15floating_traitsIS7_E6data_tEPKSG_
    .private_segment_fixed_size: 0
    .sgpr_count:     43
    .sgpr_spill_count: 0
    .symbol:         _ZN9rocsparseL20kernel_calculate_cooILi1024ELi32ELb0E21rocsparse_complex_numIdEiiEEvT4_T3_PKS3_S6_PKT2_21rocsparse_index_base_PKS4_SC_S6_SC_SC_S6_SC_PS7_PNS_15floating_traitsIS7_E6data_tEPKSG_.kd
    .uniform_work_group_size: 1
    .uses_dynamic_stack: false
    .vgpr_count:     36
    .vgpr_spill_count: 0
    .wavefront_size: 64
  - .agpr_count:     0
    .args:
      - .offset:         0
        .size:           4
        .value_kind:     by_value
      - .offset:         4
        .size:           4
        .value_kind:     by_value
      - .actual_access:  read_only
        .address_space:  global
        .offset:         8
        .size:           8
        .value_kind:     global_buffer
      - .actual_access:  read_only
        .address_space:  global
        .offset:         16
        .size:           8
        .value_kind:     global_buffer
      - .actual_access:  read_only
        .address_space:  global
        .offset:         24
        .size:           8
        .value_kind:     global_buffer
      - .offset:         32
        .size:           4
        .value_kind:     by_value
      - .actual_access:  read_only
        .address_space:  global
        .offset:         40
        .size:           8
        .value_kind:     global_buffer
      - .actual_access:  read_only
        .address_space:  global
        .offset:         48
        .size:           8
        .value_kind:     global_buffer
      - .actual_access:  read_only
        .address_space:  global
        .offset:         56
        .size:           8
        .value_kind:     global_buffer
      - .actual_access:  read_only
        .address_space:  global
        .offset:         64
        .size:           8
        .value_kind:     global_buffer
      - .actual_access:  read_only
        .address_space:  global
        .offset:         72
        .size:           8
        .value_kind:     global_buffer
      - .actual_access:  read_only
        .address_space:  global
        .offset:         80
        .size:           8
        .value_kind:     global_buffer
      - .actual_access:  read_only
        .address_space:  global
        .offset:         88
        .size:           8
        .value_kind:     global_buffer
      - .address_space:  global
        .offset:         96
        .size:           8
        .value_kind:     global_buffer
      - .address_space:  global
        .offset:         104
        .size:           8
        .value_kind:     global_buffer
      - .address_space:  global
        .offset:         112
        .size:           8
        .value_kind:     global_buffer
    .group_segment_fixed_size: 0
    .kernarg_segment_align: 8
    .kernarg_segment_size: 120
    .language:       OpenCL C
    .language_version:
      - 2
      - 0
    .max_flat_workgroup_size: 1024
    .name:           _ZN9rocsparseL20kernel_calculate_cooILi1024ELi64ELb0E21rocsparse_complex_numIdEiiEEvT4_T3_PKS3_S6_PKT2_21rocsparse_index_base_PKS4_SC_S6_SC_SC_S6_SC_PS7_PNS_15floating_traitsIS7_E6data_tEPKSG_
    .private_segment_fixed_size: 0
    .sgpr_count:     43
    .sgpr_spill_count: 0
    .symbol:         _ZN9rocsparseL20kernel_calculate_cooILi1024ELi64ELb0E21rocsparse_complex_numIdEiiEEvT4_T3_PKS3_S6_PKT2_21rocsparse_index_base_PKS4_SC_S6_SC_SC_S6_SC_PS7_PNS_15floating_traitsIS7_E6data_tEPKSG_.kd
    .uniform_work_group_size: 1
    .uses_dynamic_stack: false
    .vgpr_count:     36
    .vgpr_spill_count: 0
    .wavefront_size: 64
  - .agpr_count:     0
    .args:
      - .offset:         0
        .size:           4
        .value_kind:     by_value
      - .actual_access:  read_only
        .address_space:  global
        .offset:         8
        .size:           8
        .value_kind:     global_buffer
      - .actual_access:  read_only
        .address_space:  global
        .offset:         16
        .size:           8
        .value_kind:     global_buffer
      - .actual_access:  read_only
        .address_space:  global
        .offset:         24
        .size:           8
        .value_kind:     global_buffer
      - .offset:         32
        .size:           4
        .value_kind:     by_value
      - .address_space:  global
        .offset:         40
        .size:           8
        .value_kind:     global_buffer
      - .address_space:  global
        .offset:         48
        .size:           8
        .value_kind:     global_buffer
      - .offset:         56
        .size:           4
        .value_kind:     hidden_block_count_x
      - .offset:         60
        .size:           4
        .value_kind:     hidden_block_count_y
      - .offset:         64
        .size:           4
        .value_kind:     hidden_block_count_z
      - .offset:         68
        .size:           2
        .value_kind:     hidden_group_size_x
      - .offset:         70
        .size:           2
        .value_kind:     hidden_group_size_y
      - .offset:         72
        .size:           2
        .value_kind:     hidden_group_size_z
      - .offset:         74
        .size:           2
        .value_kind:     hidden_remainder_x
      - .offset:         76
        .size:           2
        .value_kind:     hidden_remainder_y
      - .offset:         78
        .size:           2
        .value_kind:     hidden_remainder_z
      - .offset:         96
        .size:           8
        .value_kind:     hidden_global_offset_x
      - .offset:         104
        .size:           8
        .value_kind:     hidden_global_offset_y
      - .offset:         112
        .size:           8
        .value_kind:     hidden_global_offset_z
      - .offset:         120
        .size:           2
        .value_kind:     hidden_grid_dims
    .group_segment_fixed_size: 4096
    .kernarg_segment_align: 8
    .kernarg_segment_size: 312
    .language:       OpenCL C
    .language_version:
      - 2
      - 0
    .max_flat_workgroup_size: 1024
    .name:           _ZN9rocsparseL19kernel_compute_unnzILj1024ELj32EiiEEvT2_PKT1_S4_PKS1_21rocsparse_index_base_PS2_S8_
    .private_segment_fixed_size: 0
    .sgpr_count:     34
    .sgpr_spill_count: 0
    .symbol:         _ZN9rocsparseL19kernel_compute_unnzILj1024ELj32EiiEEvT2_PKT1_S4_PKS1_21rocsparse_index_base_PS2_S8_.kd
    .uniform_work_group_size: 1
    .uses_dynamic_stack: false
    .vgpr_count:     16
    .vgpr_spill_count: 0
    .wavefront_size: 64
  - .agpr_count:     0
    .args:
      - .offset:         0
        .size:           4
        .value_kind:     by_value
      - .actual_access:  read_only
        .address_space:  global
        .offset:         8
        .size:           8
        .value_kind:     global_buffer
      - .actual_access:  read_only
        .address_space:  global
        .offset:         16
        .size:           8
        .value_kind:     global_buffer
      - .actual_access:  read_only
        .address_space:  global
        .offset:         24
        .size:           8
        .value_kind:     global_buffer
      - .offset:         32
        .size:           4
        .value_kind:     by_value
      - .address_space:  global
        .offset:         40
        .size:           8
        .value_kind:     global_buffer
      - .address_space:  global
        .offset:         48
        .size:           8
        .value_kind:     global_buffer
      - .offset:         56
        .size:           4
        .value_kind:     hidden_block_count_x
      - .offset:         60
        .size:           4
        .value_kind:     hidden_block_count_y
      - .offset:         64
        .size:           4
        .value_kind:     hidden_block_count_z
      - .offset:         68
        .size:           2
        .value_kind:     hidden_group_size_x
      - .offset:         70
        .size:           2
        .value_kind:     hidden_group_size_y
      - .offset:         72
        .size:           2
        .value_kind:     hidden_group_size_z
      - .offset:         74
        .size:           2
        .value_kind:     hidden_remainder_x
      - .offset:         76
        .size:           2
        .value_kind:     hidden_remainder_y
      - .offset:         78
        .size:           2
        .value_kind:     hidden_remainder_z
      - .offset:         96
        .size:           8
        .value_kind:     hidden_global_offset_x
      - .offset:         104
        .size:           8
        .value_kind:     hidden_global_offset_y
      - .offset:         112
        .size:           8
        .value_kind:     hidden_global_offset_z
      - .offset:         120
        .size:           2
        .value_kind:     hidden_grid_dims
    .group_segment_fixed_size: 4096
    .kernarg_segment_align: 8
    .kernarg_segment_size: 312
    .language:       OpenCL C
    .language_version:
      - 2
      - 0
    .max_flat_workgroup_size: 1024
    .name:           _ZN9rocsparseL19kernel_compute_unnzILj1024ELj64EiiEEvT2_PKT1_S4_PKS1_21rocsparse_index_base_PS2_S8_
    .private_segment_fixed_size: 0
    .sgpr_count:     34
    .sgpr_spill_count: 0
    .symbol:         _ZN9rocsparseL19kernel_compute_unnzILj1024ELj64EiiEEvT2_PKT1_S4_PKS1_21rocsparse_index_base_PS2_S8_.kd
    .uniform_work_group_size: 1
    .uses_dynamic_stack: false
    .vgpr_count:     16
    .vgpr_spill_count: 0
    .wavefront_size: 64
  - .agpr_count:     0
    .args:
      - .offset:         0
        .size:           4
        .value_kind:     by_value
      - .actual_access:  read_only
        .address_space:  global
        .offset:         8
        .size:           8
        .value_kind:     global_buffer
      - .actual_access:  read_only
        .address_space:  global
        .offset:         16
        .size:           8
        .value_kind:     global_buffer
      - .actual_access:  read_only
        .address_space:  global
        .offset:         24
        .size:           8
        .value_kind:     global_buffer
      - .offset:         32
        .size:           4
        .value_kind:     by_value
      - .actual_access:  write_only
        .address_space:  global
        .offset:         40
        .size:           8
        .value_kind:     global_buffer
      - .offset:         48
        .size:           4
        .value_kind:     hidden_block_count_x
      - .offset:         52
        .size:           4
        .value_kind:     hidden_block_count_y
      - .offset:         56
        .size:           4
        .value_kind:     hidden_block_count_z
      - .offset:         60
        .size:           2
        .value_kind:     hidden_group_size_x
      - .offset:         62
        .size:           2
        .value_kind:     hidden_group_size_y
      - .offset:         64
        .size:           2
        .value_kind:     hidden_group_size_z
      - .offset:         66
        .size:           2
        .value_kind:     hidden_remainder_x
      - .offset:         68
        .size:           2
        .value_kind:     hidden_remainder_y
      - .offset:         70
        .size:           2
        .value_kind:     hidden_remainder_z
      - .offset:         88
        .size:           8
        .value_kind:     hidden_global_offset_x
      - .offset:         96
        .size:           8
        .value_kind:     hidden_global_offset_y
      - .offset:         104
        .size:           8
        .value_kind:     hidden_global_offset_z
      - .offset:         112
        .size:           2
        .value_kind:     hidden_grid_dims
    .group_segment_fixed_size: 0
    .kernarg_segment_align: 8
    .kernarg_segment_size: 304
    .language:       OpenCL C
    .language_version:
      - 2
      - 0
    .max_flat_workgroup_size: 1024
    .name:           _ZN9rocsparseL23kernel_compute_lptr_endILj1024ELj32EiiEEvT2_PKT1_S4_PKS1_21rocsparse_index_base_PS2_
    .private_segment_fixed_size: 0
    .sgpr_count:     20
    .sgpr_spill_count: 0
    .symbol:         _ZN9rocsparseL23kernel_compute_lptr_endILj1024ELj32EiiEEvT2_PKT1_S4_PKS1_21rocsparse_index_base_PS2_.kd
    .uniform_work_group_size: 1
    .uses_dynamic_stack: false
    .vgpr_count:     8
    .vgpr_spill_count: 0
    .wavefront_size: 64
  - .agpr_count:     0
    .args:
      - .offset:         0
        .size:           4
        .value_kind:     by_value
      - .actual_access:  read_only
        .address_space:  global
        .offset:         8
        .size:           8
        .value_kind:     global_buffer
      - .actual_access:  read_only
        .address_space:  global
        .offset:         16
        .size:           8
        .value_kind:     global_buffer
      - .actual_access:  read_only
        .address_space:  global
        .offset:         24
        .size:           8
        .value_kind:     global_buffer
      - .offset:         32
        .size:           4
        .value_kind:     by_value
      - .actual_access:  write_only
        .address_space:  global
        .offset:         40
        .size:           8
        .value_kind:     global_buffer
      - .offset:         48
        .size:           4
        .value_kind:     hidden_block_count_x
      - .offset:         52
        .size:           4
        .value_kind:     hidden_block_count_y
      - .offset:         56
        .size:           4
        .value_kind:     hidden_block_count_z
      - .offset:         60
        .size:           2
        .value_kind:     hidden_group_size_x
      - .offset:         62
        .size:           2
        .value_kind:     hidden_group_size_y
      - .offset:         64
        .size:           2
        .value_kind:     hidden_group_size_z
      - .offset:         66
        .size:           2
        .value_kind:     hidden_remainder_x
      - .offset:         68
        .size:           2
        .value_kind:     hidden_remainder_y
      - .offset:         70
        .size:           2
        .value_kind:     hidden_remainder_z
      - .offset:         88
        .size:           8
        .value_kind:     hidden_global_offset_x
      - .offset:         96
        .size:           8
        .value_kind:     hidden_global_offset_y
      - .offset:         104
        .size:           8
        .value_kind:     hidden_global_offset_z
      - .offset:         112
        .size:           2
        .value_kind:     hidden_grid_dims
    .group_segment_fixed_size: 0
    .kernarg_segment_align: 8
    .kernarg_segment_size: 304
    .language:       OpenCL C
    .language_version:
      - 2
      - 0
    .max_flat_workgroup_size: 1024
    .name:           _ZN9rocsparseL23kernel_compute_lptr_endILj1024ELj64EiiEEvT2_PKT1_S4_PKS1_21rocsparse_index_base_PS2_
    .private_segment_fixed_size: 0
    .sgpr_count:     20
    .sgpr_spill_count: 0
    .symbol:         _ZN9rocsparseL23kernel_compute_lptr_endILj1024ELj64EiiEEvT2_PKT1_S4_PKS1_21rocsparse_index_base_PS2_.kd
    .uniform_work_group_size: 1
    .uses_dynamic_stack: false
    .vgpr_count:     8
    .vgpr_spill_count: 0
    .wavefront_size: 64
  - .agpr_count:     0
    .args:
      - .offset:         0
        .size:           4
        .value_kind:     by_value
      - .actual_access:  read_only
        .address_space:  global
        .offset:         8
        .size:           8
        .value_kind:     global_buffer
      - .actual_access:  read_only
        .address_space:  global
        .offset:         16
        .size:           8
        .value_kind:     global_buffer
      - .actual_access:  write_only
        .address_space:  global
        .offset:         24
        .size:           8
        .value_kind:     global_buffer
      - .offset:         32
        .size:           4
        .value_kind:     by_value
      - .offset:         40
        .size:           4
        .value_kind:     hidden_block_count_x
      - .offset:         44
        .size:           4
        .value_kind:     hidden_block_count_y
      - .offset:         48
        .size:           4
        .value_kind:     hidden_block_count_z
      - .offset:         52
        .size:           2
        .value_kind:     hidden_group_size_x
      - .offset:         54
        .size:           2
        .value_kind:     hidden_group_size_y
      - .offset:         56
        .size:           2
        .value_kind:     hidden_group_size_z
      - .offset:         58
        .size:           2
        .value_kind:     hidden_remainder_x
      - .offset:         60
        .size:           2
        .value_kind:     hidden_remainder_y
      - .offset:         62
        .size:           2
        .value_kind:     hidden_remainder_z
      - .offset:         80
        .size:           8
        .value_kind:     hidden_global_offset_x
      - .offset:         88
        .size:           8
        .value_kind:     hidden_global_offset_y
      - .offset:         96
        .size:           8
        .value_kind:     hidden_global_offset_z
      - .offset:         104
        .size:           2
        .value_kind:     hidden_grid_dims
    .group_segment_fixed_size: 0
    .kernarg_segment_align: 8
    .kernarg_segment_size: 296
    .language:       OpenCL C
    .language_version:
      - 2
      - 0
    .max_flat_workgroup_size: 1024
    .name:           _ZN9rocsparseL26kernel_initialize_ucsr_ptrILj1024ELj32EiiEEvT2_PKT1_S4_PS2_21rocsparse_index_base_
    .private_segment_fixed_size: 0
    .sgpr_count:     16
    .sgpr_spill_count: 0
    .symbol:         _ZN9rocsparseL26kernel_initialize_ucsr_ptrILj1024ELj32EiiEEvT2_PKT1_S4_PS2_21rocsparse_index_base_.kd
    .uniform_work_group_size: 1
    .uses_dynamic_stack: false
    .vgpr_count:     5
    .vgpr_spill_count: 0
    .wavefront_size: 64
  - .agpr_count:     0
    .args:
      - .offset:         0
        .size:           4
        .value_kind:     by_value
      - .actual_access:  read_only
        .address_space:  global
        .offset:         8
        .size:           8
        .value_kind:     global_buffer
      - .actual_access:  read_only
        .address_space:  global
        .offset:         16
        .size:           8
        .value_kind:     global_buffer
      - .actual_access:  write_only
        .address_space:  global
        .offset:         24
        .size:           8
        .value_kind:     global_buffer
      - .offset:         32
        .size:           4
        .value_kind:     by_value
      - .offset:         40
        .size:           4
        .value_kind:     hidden_block_count_x
      - .offset:         44
        .size:           4
        .value_kind:     hidden_block_count_y
      - .offset:         48
        .size:           4
        .value_kind:     hidden_block_count_z
      - .offset:         52
        .size:           2
        .value_kind:     hidden_group_size_x
      - .offset:         54
        .size:           2
        .value_kind:     hidden_group_size_y
      - .offset:         56
        .size:           2
        .value_kind:     hidden_group_size_z
      - .offset:         58
        .size:           2
        .value_kind:     hidden_remainder_x
      - .offset:         60
        .size:           2
        .value_kind:     hidden_remainder_y
      - .offset:         62
        .size:           2
        .value_kind:     hidden_remainder_z
      - .offset:         80
        .size:           8
        .value_kind:     hidden_global_offset_x
      - .offset:         88
        .size:           8
        .value_kind:     hidden_global_offset_y
      - .offset:         96
        .size:           8
        .value_kind:     hidden_global_offset_z
      - .offset:         104
        .size:           2
        .value_kind:     hidden_grid_dims
    .group_segment_fixed_size: 0
    .kernarg_segment_align: 8
    .kernarg_segment_size: 296
    .language:       OpenCL C
    .language_version:
      - 2
      - 0
    .max_flat_workgroup_size: 1024
    .name:           _ZN9rocsparseL26kernel_initialize_ucsr_ptrILj1024ELj64EiiEEvT2_PKT1_S4_PS2_21rocsparse_index_base_
    .private_segment_fixed_size: 0
    .sgpr_count:     16
    .sgpr_spill_count: 0
    .symbol:         _ZN9rocsparseL26kernel_initialize_ucsr_ptrILj1024ELj64EiiEEvT2_PKT1_S4_PS2_21rocsparse_index_base_.kd
    .uniform_work_group_size: 1
    .uses_dynamic_stack: false
    .vgpr_count:     5
    .vgpr_spill_count: 0
    .wavefront_size: 64
  - .agpr_count:     0
    .args:
      - .offset:         0
        .size:           4
        .value_kind:     by_value
      - .actual_access:  read_only
        .address_space:  global
        .offset:         8
        .size:           8
        .value_kind:     global_buffer
      - .actual_access:  read_only
        .address_space:  global
        .offset:         16
        .size:           8
        .value_kind:     global_buffer
      - .actual_access:  read_only
        .address_space:  global
        .offset:         24
        .size:           8
        .value_kind:     global_buffer
      - .offset:         32
        .size:           4
        .value_kind:     by_value
      - .actual_access:  read_only
        .address_space:  global
        .offset:         40
        .size:           8
        .value_kind:     global_buffer
      - .actual_access:  write_only
        .address_space:  global
        .offset:         48
        .size:           8
        .value_kind:     global_buffer
      - .actual_access:  write_only
        .address_space:  global
        .offset:         56
        .size:           8
        .value_kind:     global_buffer
      - .actual_access:  write_only
        .address_space:  global
        .offset:         64
        .size:           8
        .value_kind:     global_buffer
      - .offset:         72
        .size:           4
        .value_kind:     hidden_block_count_x
      - .offset:         76
        .size:           4
        .value_kind:     hidden_block_count_y
      - .offset:         80
        .size:           4
        .value_kind:     hidden_block_count_z
      - .offset:         84
        .size:           2
        .value_kind:     hidden_group_size_x
      - .offset:         86
        .size:           2
        .value_kind:     hidden_group_size_y
      - .offset:         88
        .size:           2
        .value_kind:     hidden_group_size_z
      - .offset:         90
        .size:           2
        .value_kind:     hidden_remainder_x
      - .offset:         92
        .size:           2
        .value_kind:     hidden_remainder_y
      - .offset:         94
        .size:           2
        .value_kind:     hidden_remainder_z
      - .offset:         112
        .size:           8
        .value_kind:     hidden_global_offset_x
      - .offset:         120
        .size:           8
        .value_kind:     hidden_global_offset_y
      - .offset:         128
        .size:           8
        .value_kind:     hidden_global_offset_z
      - .offset:         136
        .size:           2
        .value_kind:     hidden_grid_dims
    .group_segment_fixed_size: 0
    .kernarg_segment_align: 8
    .kernarg_segment_size: 328
    .language:       OpenCL C
    .language_version:
      - 2
      - 0
    .max_flat_workgroup_size: 1024
    .name:           _ZN9rocsparseL18kernel_compute_cooILj1024ELj32EiiEEvT2_PKT1_S4_PKS1_21rocsparse_index_base_S4_PS1_S8_PS2_
    .private_segment_fixed_size: 0
    .sgpr_count:     24
    .sgpr_spill_count: 0
    .symbol:         _ZN9rocsparseL18kernel_compute_cooILj1024ELj32EiiEEvT2_PKT1_S4_PKS1_21rocsparse_index_base_S4_PS1_S8_PS2_.kd
    .uniform_work_group_size: 1
    .uses_dynamic_stack: false
    .vgpr_count:     20
    .vgpr_spill_count: 0
    .wavefront_size: 64
  - .agpr_count:     0
    .args:
      - .offset:         0
        .size:           4
        .value_kind:     by_value
      - .actual_access:  read_only
        .address_space:  global
        .offset:         8
        .size:           8
        .value_kind:     global_buffer
      - .actual_access:  read_only
        .address_space:  global
        .offset:         16
        .size:           8
        .value_kind:     global_buffer
      - .actual_access:  read_only
        .address_space:  global
        .offset:         24
        .size:           8
        .value_kind:     global_buffer
      - .offset:         32
        .size:           4
        .value_kind:     by_value
      - .actual_access:  read_only
        .address_space:  global
        .offset:         40
        .size:           8
        .value_kind:     global_buffer
      - .actual_access:  write_only
        .address_space:  global
        .offset:         48
        .size:           8
        .value_kind:     global_buffer
      - .actual_access:  write_only
        .address_space:  global
        .offset:         56
        .size:           8
        .value_kind:     global_buffer
      - .actual_access:  write_only
        .address_space:  global
        .offset:         64
        .size:           8
        .value_kind:     global_buffer
      - .offset:         72
        .size:           4
        .value_kind:     hidden_block_count_x
      - .offset:         76
        .size:           4
        .value_kind:     hidden_block_count_y
      - .offset:         80
        .size:           4
        .value_kind:     hidden_block_count_z
      - .offset:         84
        .size:           2
        .value_kind:     hidden_group_size_x
      - .offset:         86
        .size:           2
        .value_kind:     hidden_group_size_y
      - .offset:         88
        .size:           2
        .value_kind:     hidden_group_size_z
      - .offset:         90
        .size:           2
        .value_kind:     hidden_remainder_x
      - .offset:         92
        .size:           2
        .value_kind:     hidden_remainder_y
      - .offset:         94
        .size:           2
        .value_kind:     hidden_remainder_z
      - .offset:         112
        .size:           8
        .value_kind:     hidden_global_offset_x
      - .offset:         120
        .size:           8
        .value_kind:     hidden_global_offset_y
      - .offset:         128
        .size:           8
        .value_kind:     hidden_global_offset_z
      - .offset:         136
        .size:           2
        .value_kind:     hidden_grid_dims
    .group_segment_fixed_size: 0
    .kernarg_segment_align: 8
    .kernarg_segment_size: 328
    .language:       OpenCL C
    .language_version:
      - 2
      - 0
    .max_flat_workgroup_size: 1024
    .name:           _ZN9rocsparseL18kernel_compute_cooILj1024ELj64EiiEEvT2_PKT1_S4_PKS1_21rocsparse_index_base_S4_PS1_S8_PS2_
    .private_segment_fixed_size: 0
    .sgpr_count:     24
    .sgpr_spill_count: 0
    .symbol:         _ZN9rocsparseL18kernel_compute_cooILj1024ELj64EiiEEvT2_PKT1_S4_PKS1_21rocsparse_index_base_S4_PS1_S8_PS2_.kd
    .uniform_work_group_size: 1
    .uses_dynamic_stack: false
    .vgpr_count:     20
    .vgpr_spill_count: 0
    .wavefront_size: 64
amdhsa.target:   amdgcn-amd-amdhsa--gfx950
amdhsa.version:
  - 1
  - 2
...

	.end_amdgpu_metadata
